;; amdgpu-corpus repo=ROCm/rocFFT kind=compiled arch=gfx1030 opt=O3
	.text
	.amdgcn_target "amdgcn-amd-amdhsa--gfx1030"
	.amdhsa_code_object_version 6
	.protected	bluestein_single_back_len1122_dim1_sp_op_CI_CI ; -- Begin function bluestein_single_back_len1122_dim1_sp_op_CI_CI
	.globl	bluestein_single_back_len1122_dim1_sp_op_CI_CI
	.p2align	8
	.type	bluestein_single_back_len1122_dim1_sp_op_CI_CI,@function
bluestein_single_back_len1122_dim1_sp_op_CI_CI: ; @bluestein_single_back_len1122_dim1_sp_op_CI_CI
; %bb.0:
	s_load_dwordx4 s[0:3], s[4:5], 0x28
	v_mul_u32_u24_e32 v1, 0x283, v0
	v_mov_b32_e32 v73, 0
	v_lshrrev_b32_e32 v1, 16, v1
	v_lshl_add_u32 v72, s6, 1, v1
	s_waitcnt lgkmcnt(0)
	v_cmp_gt_u64_e32 vcc_lo, s[0:1], v[72:73]
	s_and_saveexec_b32 s0, vcc_lo
	s_cbranch_execz .LBB0_23
; %bb.1:
	v_mul_lo_u16 v2, 0x66, v1
	s_clause 0x1
	s_load_dwordx2 s[12:13], s[4:5], 0x0
	s_load_dwordx2 s[14:15], s[4:5], 0x38
	v_and_b32_e32 v1, 1, v1
	v_sub_nc_u16 v0, v0, v2
	v_cmp_eq_u32_e32 vcc_lo, 1, v1
	v_and_b32_e32 v92, 0xffff, v0
	v_cndmask_b32_e64 v50, 0, 0x462, vcc_lo
	v_cmp_gt_u16_e32 vcc_lo, 0x42, v0
	v_lshlrev_b32_e32 v91, 3, v92
	v_lshlrev_b32_e32 v93, 3, v50
	s_and_saveexec_b32 s1, vcc_lo
	s_cbranch_execz .LBB0_3
; %bb.2:
	s_load_dwordx2 s[6:7], s[4:5], 0x18
	s_waitcnt lgkmcnt(0)
	v_add_co_u32 v20, s0, s12, v91
	v_add_co_ci_u32_e64 v21, null, s13, 0, s0
	v_add_nc_u32_e32 v71, v93, v91
	v_lshl_add_u32 v73, v92, 3, v93
	v_add_nc_u32_e32 v74, 0x400, v71
	v_add_nc_u32_e32 v75, 0x800, v71
	;; [unrolled: 1-line block ×6, first 2 shown]
	s_load_dwordx4 s[8:11], s[6:7], 0x0
	s_clause 0x3
	global_load_dwordx2 v[4:5], v91, s[12:13]
	global_load_dwordx2 v[6:7], v91, s[12:13] offset:528
	global_load_dwordx2 v[8:9], v91, s[12:13] offset:1056
	;; [unrolled: 1-line block ×3, first 2 shown]
	s_waitcnt lgkmcnt(0)
	v_mad_u64_u32 v[0:1], null, s10, v72, 0
	v_mad_u64_u32 v[2:3], null, s8, v92, 0
	s_mul_i32 s6, s9, 0x210
	s_mul_hi_u32 s7, s8, 0x210
	s_add_i32 s7, s7, s6
	v_mad_u64_u32 v[12:13], null, s11, v72, v[1:2]
	v_add_co_u32 v13, s0, 0x800, v20
	v_add_co_ci_u32_e64 v14, s0, 0, v21, s0
	v_mov_b32_e32 v1, v12
	s_clause 0x3
	global_load_dwordx2 v[22:23], v[13:14], off offset:64
	global_load_dwordx2 v[24:25], v[13:14], off offset:592
	;; [unrolled: 1-line block ×4, first 2 shown]
	v_lshlrev_b64 v[0:1], 3, v[0:1]
	s_waitcnt vmcnt(7)
	v_mad_u64_u32 v[15:16], null, s9, v92, v[3:4]
	v_add_co_u32 v16, s0, 0x1000, v20
	v_add_co_ci_u32_e64 v17, s0, 0, v21, s0
	v_add_co_u32 v18, s0, 0x1800, v20
	v_mov_b32_e32 v3, v15
	v_add_co_ci_u32_e64 v19, s0, 0, v21, s0
	v_add_co_u32 v20, s0, 0x2000, v20
	v_add_co_ci_u32_e64 v21, s0, 0, v21, s0
	v_lshlrev_b64 v[2:3], 3, v[2:3]
	v_add_co_u32 v0, s0, s2, v0
	v_add_co_ci_u32_e64 v1, s0, s3, v1, s0
	s_mul_i32 s2, s8, 0x210
	v_add_co_u32 v0, s0, v0, v2
	v_add_co_ci_u32_e64 v1, s0, v1, v3, s0
	s_clause 0x3
	global_load_dwordx2 v[28:29], v[16:17], off offset:128
	global_load_dwordx2 v[30:31], v[16:17], off offset:656
	global_load_dwordx2 v[32:33], v[16:17], off offset:1184
	global_load_dwordx2 v[16:17], v[16:17], off offset:1712
	v_add_co_u32 v2, s0, v0, s2
	v_add_co_ci_u32_e64 v3, s0, s7, v1, s0
	s_clause 0x2
	global_load_dwordx2 v[36:37], v[18:19], off offset:192
	global_load_dwordx2 v[38:39], v[18:19], off offset:720
	;; [unrolled: 1-line block ×3, first 2 shown]
	v_add_co_u32 v14, s0, v2, s2
	v_add_co_ci_u32_e64 v15, s0, s7, v3, s0
	v_add_co_u32 v34, s0, v14, s2
	v_add_co_ci_u32_e64 v35, s0, s7, v15, s0
	v_add_co_u32 v42, s0, v34, s2
	v_add_co_ci_u32_e64 v43, s0, s7, v35, s0
	s_clause 0x3
	global_load_dwordx2 v[0:1], v[0:1], off
	global_load_dwordx2 v[2:3], v[2:3], off
	;; [unrolled: 1-line block ×4, first 2 shown]
	v_add_co_u32 v44, s0, v42, s2
	v_add_co_ci_u32_e64 v45, s0, s7, v43, s0
	global_load_dwordx2 v[42:43], v[42:43], off
	v_add_co_u32 v46, s0, v44, s2
	v_add_co_ci_u32_e64 v47, s0, s7, v45, s0
	global_load_dwordx2 v[44:45], v[44:45], off
	v_add_co_u32 v48, s0, v46, s2
	v_add_co_ci_u32_e64 v49, s0, s7, v47, s0
	global_load_dwordx2 v[46:47], v[46:47], off
	v_add_co_u32 v51, s0, v48, s2
	v_add_co_ci_u32_e64 v52, s0, s7, v49, s0
	global_load_dwordx2 v[48:49], v[48:49], off
	v_add_co_u32 v53, s0, v51, s2
	v_add_co_ci_u32_e64 v54, s0, s7, v52, s0
	global_load_dwordx2 v[51:52], v[51:52], off
	v_add_co_u32 v55, s0, v53, s2
	v_add_co_ci_u32_e64 v56, s0, s7, v54, s0
	global_load_dwordx2 v[53:54], v[53:54], off
	v_add_co_u32 v57, s0, v55, s2
	v_add_co_ci_u32_e64 v58, s0, s7, v56, s0
	global_load_dwordx2 v[55:56], v[55:56], off
	v_add_co_u32 v59, s0, v57, s2
	v_add_co_ci_u32_e64 v60, s0, s7, v58, s0
	global_load_dwordx2 v[57:58], v[57:58], off
	v_add_co_u32 v61, s0, v59, s2
	v_add_co_ci_u32_e64 v62, s0, s7, v60, s0
	global_load_dwordx2 v[59:60], v[59:60], off
	v_add_co_u32 v63, s0, v61, s2
	v_add_co_ci_u32_e64 v64, s0, s7, v62, s0
	global_load_dwordx2 v[61:62], v[61:62], off
	v_add_co_u32 v65, s0, v63, s2
	v_add_co_ci_u32_e64 v66, s0, s7, v64, s0
	global_load_dwordx2 v[63:64], v[63:64], off
	v_add_co_u32 v67, s0, v65, s2
	v_add_co_ci_u32_e64 v68, s0, s7, v66, s0
	global_load_dwordx2 v[18:19], v[18:19], off offset:1776
	global_load_dwordx2 v[65:66], v[65:66], off
	global_load_dwordx2 v[20:21], v[20:21], off offset:256
	global_load_dwordx2 v[67:68], v[67:68], off
	s_waitcnt vmcnt(18)
	v_mul_f32_e32 v69, v1, v5
	v_mul_f32_e32 v70, v0, v5
	s_waitcnt vmcnt(17)
	v_mul_f32_e32 v5, v3, v7
	v_mul_f32_e32 v7, v2, v7
	v_fmac_f32_e32 v69, v0, v4
	v_fma_f32 v70, v1, v4, -v70
	s_waitcnt vmcnt(16)
	v_mul_f32_e32 v1, v14, v9
	v_mul_f32_e32 v0, v15, v9
	s_waitcnt vmcnt(14)
	v_mul_f32_e32 v4, v42, v23
	v_fmac_f32_e32 v5, v2, v6
	v_fma_f32 v6, v3, v6, -v7
	v_mul_f32_e32 v3, v34, v11
	v_mul_f32_e32 v2, v35, v11
	v_fma_f32 v1, v15, v8, -v1
	v_fmac_f32_e32 v0, v14, v8
	v_mul_f32_e32 v7, v43, v23
	v_fma_f32 v8, v43, v22, -v4
	s_waitcnt vmcnt(13)
	v_mul_f32_e32 v4, v44, v25
	v_mul_f32_e32 v9, v45, v25
	s_waitcnt vmcnt(12)
	v_mul_f32_e32 v11, v46, v27
	v_mul_f32_e32 v14, v47, v27
	v_fma_f32 v3, v35, v10, -v3
	v_fmac_f32_e32 v2, v34, v10
	v_fmac_f32_e32 v7, v42, v22
	v_fma_f32 v10, v45, v24, -v4
	v_fmac_f32_e32 v9, v44, v24
	v_fma_f32 v15, v47, v26, -v11
	v_fmac_f32_e32 v14, v46, v26
	ds_write_b64 v73, v[69:70]
	ds_write2_b64 v71, v[5:6], v[0:1] offset0:66 offset1:132
	ds_write2_b64 v74, v[2:3], v[7:8] offset0:70 offset1:136
	s_waitcnt vmcnt(11)
	v_mul_f32_e32 v0, v49, v13
	v_mul_f32_e32 v1, v48, v13
	ds_write2_b64 v75, v[9:10], v[14:15] offset0:74 offset1:140
	s_waitcnt vmcnt(10)
	v_mul_f32_e32 v2, v52, v29
	v_mul_f32_e32 v3, v51, v29
	s_waitcnt vmcnt(9)
	v_mul_f32_e32 v4, v54, v31
	v_mul_f32_e32 v5, v53, v31
	s_waitcnt vmcnt(8)
	v_mul_f32_e32 v6, v56, v33
	v_mul_f32_e32 v7, v55, v33
	v_fmac_f32_e32 v0, v48, v12
	v_fma_f32 v1, v49, v12, -v1
	v_fmac_f32_e32 v2, v51, v28
	s_waitcnt vmcnt(7)
	v_mul_f32_e32 v8, v58, v17
	v_mul_f32_e32 v9, v57, v17
	v_fma_f32 v3, v52, v28, -v3
	v_fmac_f32_e32 v4, v53, v30
	v_fma_f32 v5, v54, v30, -v5
	s_waitcnt vmcnt(6)
	v_mul_f32_e32 v10, v60, v37
	v_mul_f32_e32 v11, v59, v37
	v_fmac_f32_e32 v8, v57, v16
	v_fma_f32 v9, v58, v16, -v9
	v_fmac_f32_e32 v6, v55, v32
	s_waitcnt vmcnt(5)
	v_mul_f32_e32 v12, v62, v39
	v_mul_f32_e32 v13, v61, v39
	v_fma_f32 v7, v56, v32, -v7
	v_fmac_f32_e32 v10, v59, v36
	v_fma_f32 v11, v60, v36, -v11
	s_waitcnt vmcnt(4)
	v_mul_f32_e32 v14, v64, v41
	v_mul_f32_e32 v15, v63, v41
	v_fmac_f32_e32 v12, v61, v38
	s_waitcnt vmcnt(2)
	v_mul_f32_e32 v16, v66, v19
	v_mul_f32_e32 v17, v65, v19
	s_waitcnt vmcnt(0)
	v_mul_f32_e32 v19, v68, v21
	v_mul_f32_e32 v21, v67, v21
	v_fma_f32 v13, v62, v38, -v13
	v_fmac_f32_e32 v14, v63, v40
	v_fma_f32 v15, v64, v40, -v15
	v_fmac_f32_e32 v16, v65, v18
	v_fma_f32 v17, v66, v18, -v17
	v_fmac_f32_e32 v19, v67, v20
	v_fma_f32 v20, v68, v20, -v21
	v_add_nc_u32_e32 v18, 0x1c00, v71
	ds_write2_b64 v76, v[0:1], v[2:3] offset0:78 offset1:144
	ds_write2_b64 v77, v[4:5], v[6:7] offset0:82 offset1:148
	;; [unrolled: 1-line block ×5, first 2 shown]
.LBB0_3:
	s_or_b32 exec_lo, exec_lo, s1
	s_clause 0x1
	s_load_dwordx2 s[0:1], s[4:5], 0x20
	s_load_dwordx2 s[2:3], s[4:5], 0x8
	v_mov_b32_e32 v8, 0
	v_mov_b32_e32 v9, 0
	s_waitcnt lgkmcnt(0)
	s_barrier
	buffer_gl0_inv
                                        ; implicit-def: $vgpr26
                                        ; implicit-def: $vgpr20
                                        ; implicit-def: $vgpr16
                                        ; implicit-def: $vgpr12
                                        ; implicit-def: $vgpr40
                                        ; implicit-def: $vgpr30
                                        ; implicit-def: $vgpr38
                                        ; implicit-def: $vgpr34
	s_and_saveexec_b32 s4, vcc_lo
	s_cbranch_execz .LBB0_5
; %bb.4:
	v_lshl_add_u32 v0, v50, 3, v91
	v_add_nc_u32_e32 v1, 0x800, v0
	v_add_nc_u32_e32 v2, 0x1000, v0
	;; [unrolled: 1-line block ×3, first 2 shown]
	ds_read2_b64 v[8:11], v0 offset1:66
	ds_read2_b64 v[32:35], v0 offset0:132 offset1:198
	ds_read2_b64 v[36:39], v1 offset0:8 offset1:74
	;; [unrolled: 1-line block ×7, first 2 shown]
	ds_read_b64 v[40:41], v0 offset:8448
.LBB0_5:
	s_or_b32 exec_lo, exec_lo, s4
	s_waitcnt lgkmcnt(0)
	v_sub_f32_e32 v42, v11, v41
	v_add_f32_e32 v51, v40, v10
	v_sub_f32_e32 v44, v10, v40
	v_sub_f32_e32 v43, v33, v15
	v_add_f32_e32 v52, v41, v11
	v_mul_f32_e32 v59, 0xbeb8f4ab, v42
	v_add_f32_e32 v53, v14, v32
	v_sub_f32_e32 v48, v32, v14
	v_mul_f32_e32 v68, 0xbeb8f4ab, v44
	v_mul_f32_e32 v58, 0xbf2c7751, v43
	v_fmamk_f32 v0, v51, 0x3f6eb680, v59
	v_sub_f32_e32 v45, v35, v13
	v_add_f32_e32 v54, v15, v33
	v_mul_f32_e32 v67, 0xbf2c7751, v48
	v_fma_f32 v1, 0x3f6eb680, v52, -v68
	v_fmamk_f32 v2, v53, 0x3f3d2fb0, v58
	v_add_f32_e32 v0, v0, v8
	v_sub_f32_e32 v122, v34, v12
	v_add_f32_e32 v55, v12, v34
	v_mul_f32_e32 v63, 0xbf65296c, v45
	v_sub_f32_e32 v49, v37, v19
	v_fma_f32 v3, 0x3f3d2fb0, v54, -v67
	v_add_f32_e32 v1, v1, v9
	v_add_f32_e32 v0, v2, v0
	;; [unrolled: 1-line block ×3, first 2 shown]
	v_mul_f32_e32 v71, 0xbf65296c, v122
	v_fmamk_f32 v2, v55, 0x3ee437d1, v63
	v_add_f32_e32 v57, v18, v36
	v_mul_f32_e32 v66, 0xbf7ee86f, v49
	v_sub_f32_e32 v124, v36, v18
	v_sub_f32_e32 v123, v39, v17
	v_add_f32_e32 v1, v3, v1
	v_fma_f32 v3, 0x3ee437d1, v56, -v71
	v_add_f32_e32 v0, v2, v0
	v_fmamk_f32 v2, v57, 0x3dbcf732, v66
	v_add_f32_e32 v61, v19, v37
	v_mul_f32_e32 v78, 0xbf7ee86f, v124
	v_add_f32_e32 v60, v16, v38
	v_mul_f32_e32 v75, 0xbf763a35, v123
	v_sub_f32_e32 v126, v38, v16
	v_add_f32_e32 v1, v3, v1
	v_fma_f32 v3, 0x3dbcf732, v61, -v78
	v_add_f32_e32 v0, v2, v0
	v_fmamk_f32 v2, v60, 0xbe8c1d8e, v75
	v_add_f32_e32 v62, v17, v39
	v_mul_f32_e32 v80, 0xbf763a35, v126
	v_sub_f32_e32 v125, v29, v23
	v_add_f32_e32 v1, v3, v1
	v_add_f32_e32 v0, v2, v0
	v_sub_f32_e32 v145, v28, v22
	v_fma_f32 v2, 0xbe8c1d8e, v62, -v80
	v_add_f32_e32 v64, v22, v28
	v_mul_f32_e32 v79, 0xbf4c4adb, v125
	v_sub_f32_e32 v140, v31, v21
	v_add_f32_e32 v65, v23, v29
	v_mul_f32_e32 v81, 0xbf4c4adb, v145
	v_add_f32_e32 v1, v2, v1
	v_fmamk_f32 v2, v64, 0xbf1a4643, v79
	v_sub_f32_e32 v152, v30, v20
	v_add_f32_e32 v69, v20, v30
	v_mul_f32_e32 v82, 0xbf06c442, v140
	v_sub_f32_e32 v154, v25, v27
	v_fma_f32 v3, 0xbf1a4643, v65, -v81
	v_add_f32_e32 v70, v21, v31
	v_mul_f32_e32 v84, 0xbf06c442, v152
	v_add_f32_e32 v0, v2, v0
	v_fmamk_f32 v2, v69, 0xbf59a7d5, v82
	v_add_f32_e32 v76, v26, v24
	v_mul_f32_e32 v83, 0xbe3c28d5, v154
	v_add_f32_e32 v1, v3, v1
	v_fma_f32 v3, 0xbf59a7d5, v70, -v84
	v_add_f32_e32 v0, v2, v0
	v_mul_f32_e32 v90, 0xbf2c7751, v42
	v_fmamk_f32 v2, v76, 0xbf7ba420, v83
	v_mul_f32_e32 v101, 0xbf2c7751, v44
	v_add_f32_e32 v1, v3, v1
	v_mul_f32_e32 v96, 0xbf7ee86f, v43
	v_mul_f32_e32 v102, 0xbf7ee86f, v48
	v_add_f32_e32 v73, v2, v0
	v_fmamk_f32 v0, v51, 0x3f3d2fb0, v90
	v_fma_f32 v3, 0x3f3d2fb0, v52, -v101
	v_fmamk_f32 v4, v53, 0x3dbcf732, v96
	v_mul_f32_e32 v97, 0xbf4c4adb, v45
	v_fma_f32 v5, 0x3dbcf732, v54, -v102
	v_add_f32_e32 v0, v0, v8
	v_add_f32_e32 v3, v3, v9
	v_mul_f32_e32 v98, 0xbf4c4adb, v122
	v_mul_f32_e32 v95, 0xbe3c28d5, v49
	;; [unrolled: 1-line block ×3, first 2 shown]
	v_add_f32_e32 v0, v4, v0
	v_fmamk_f32 v4, v55, 0xbf1a4643, v97
	v_add_f32_e32 v3, v5, v3
	v_fma_f32 v5, 0xbf1a4643, v56, -v98
	v_sub_f32_e32 v158, v24, v26
	v_mul_f32_e32 v88, 0x3f06c442, v123
	v_add_f32_e32 v0, v4, v0
	v_fmamk_f32 v4, v57, 0xbf7ba420, v95
	v_add_f32_e32 v3, v5, v3
	v_fma_f32 v5, 0xbf7ba420, v61, -v99
	v_mul_f32_e32 v103, 0x3f06c442, v126
	v_add_f32_e32 v77, v27, v25
	v_mul_f32_e32 v85, 0xbe3c28d5, v158
	v_add_f32_e32 v0, v4, v0
	v_fmamk_f32 v4, v60, 0xbf59a7d5, v88
	v_mul_f32_e32 v86, 0x3f763a35, v125
	v_add_f32_e32 v3, v5, v3
	v_fma_f32 v5, 0xbf59a7d5, v62, -v103
	v_mul_f32_e32 v100, 0x3f763a35, v145
	v_fma_f32 v2, 0xbf7ba420, v77, -v85
	v_add_f32_e32 v0, v4, v0
	v_fmamk_f32 v4, v64, 0xbe8c1d8e, v86
	v_mul_f32_e32 v87, 0x3f65296c, v140
	v_add_f32_e32 v3, v5, v3
	v_fma_f32 v5, 0xbe8c1d8e, v65, -v100
	v_mul_f32_e32 v104, 0x3f65296c, v152
	v_add_f32_e32 v0, v4, v0
	v_fmamk_f32 v4, v69, 0x3ee437d1, v87
	v_add_f32_e32 v74, v2, v1
	v_add_f32_e32 v1, v5, v3
	v_fma_f32 v2, 0x3ee437d1, v70, -v104
	v_mul_f32_e32 v112, 0xbf65296c, v42
	v_mul_f32_e32 v89, 0x3eb8f4ab, v154
	v_add_f32_e32 v0, v4, v0
	v_mul_f32_e32 v111, 0xbf4c4adb, v43
	v_add_f32_e32 v1, v2, v1
	v_fmamk_f32 v2, v51, 0x3ee437d1, v112
	v_fmamk_f32 v3, v76, 0x3f6eb680, v89
	v_mul_f32_e32 v120, 0xbf65296c, v44
	v_fmamk_f32 v6, v53, 0xbf1a4643, v111
	v_mul_f32_e32 v113, 0x3e3c28d5, v45
	v_add_f32_e32 v5, v2, v8
	v_add_f32_e32 v2, v3, v0
	v_fma_f32 v0, 0x3ee437d1, v52, -v120
	v_mul_f32_e32 v121, 0xbf4c4adb, v48
	v_mul_f32_e32 v110, 0x3f763a35, v49
	v_add_f32_e32 v3, v6, v5
	v_fmamk_f32 v5, v55, 0xbf7ba420, v113
	v_add_f32_e32 v0, v0, v9
	v_fma_f32 v6, 0xbf1a4643, v54, -v121
	v_mul_f32_e32 v119, 0x3e3c28d5, v122
	v_mul_f32_e32 v108, 0x3f2c7751, v123
	v_add_f32_e32 v3, v5, v3
	v_fmamk_f32 v5, v57, 0xbe8c1d8e, v110
	;; [unrolled: 6-line block ×4, first 2 shown]
	v_mul_f32_e32 v106, 0xbf7ee86f, v140
	v_add_f32_e32 v0, v6, v0
	v_fma_f32 v6, 0x3f3d2fb0, v62, -v117
	v_mul_f32_e32 v116, 0xbeb8f4ab, v145
	v_fma_f32 v4, 0x3f6eb680, v77, -v105
	v_add_f32_e32 v3, v5, v3
	v_fmamk_f32 v5, v69, 0x3dbcf732, v106
	v_add_f32_e32 v0, v6, v0
	v_fma_f32 v6, 0x3f6eb680, v65, -v116
	v_mul_f32_e32 v114, 0xbf7ee86f, v152
	v_mul_f32_e32 v107, 0xbf06c442, v154
	v_add_f32_e32 v5, v5, v3
	v_add_f32_e32 v3, v4, v1
	;; [unrolled: 1-line block ×3, first 2 shown]
	v_fma_f32 v4, 0x3dbcf732, v70, -v114
	v_mul_f32_e32 v128, 0xbf7ee86f, v42
	v_fmamk_f32 v7, v76, 0xbf59a7d5, v107
	v_mul_f32_e32 v135, 0xbe3c28d5, v43
	v_mul_f32_e32 v147, 0xbf7ee86f, v44
	v_add_f32_e32 v1, v4, v1
	v_fmamk_f32 v4, v51, 0x3dbcf732, v128
	v_add_f32_e32 v0, v7, v5
	v_fmamk_f32 v7, v53, 0xbf7ba420, v135
	v_mul_f32_e32 v130, 0x3f763a35, v45
	v_fma_f32 v6, 0x3dbcf732, v52, -v147
	v_add_f32_e32 v4, v4, v8
	v_mul_f32_e32 v148, 0xbe3c28d5, v48
	v_mul_f32_e32 v131, 0x3eb8f4ab, v49
	;; [unrolled: 1-line block ×3, first 2 shown]
	v_add_f32_e32 v6, v6, v9
	v_add_f32_e32 v4, v7, v4
	v_fmamk_f32 v7, v55, 0xbe8c1d8e, v130
	v_fma_f32 v46, 0xbf7ba420, v54, -v148
	v_mul_f32_e32 v142, 0x3f763a35, v122
	v_mul_f32_e32 v132, 0xbf65296c, v123
	v_fma_f32 v5, 0xbf59a7d5, v77, -v115
	v_add_f32_e32 v4, v7, v4
	v_fmamk_f32 v7, v57, 0x3f6eb680, v131
	v_add_f32_e32 v6, v46, v6
	v_fma_f32 v46, 0xbe8c1d8e, v56, -v142
	v_mul_f32_e32 v143, 0x3eb8f4ab, v124
	v_mul_f32_e32 v133, 0xbf06c442, v125
	v_add_f32_e32 v4, v7, v4
	v_fmamk_f32 v7, v60, 0x3ee437d1, v132
	v_add_f32_e32 v6, v46, v6
	v_fma_f32 v46, 0x3f6eb680, v61, -v143
	v_mul_f32_e32 v144, 0xbf65296c, v126
	v_add_f32_e32 v1, v5, v1
	v_add_f32_e32 v4, v7, v4
	v_fmamk_f32 v5, v64, 0xbf59a7d5, v133
	v_mul_f32_e32 v176, 0xbf763a35, v42
	v_add_f32_e32 v6, v46, v6
	v_fma_f32 v46, 0x3ee437d1, v62, -v144
	v_mul_f32_e32 v137, 0x3f4c4adb, v140
	v_add_f32_e32 v4, v5, v4
	v_fmamk_f32 v5, v51, 0xbe8c1d8e, v176
	v_mul_f32_e32 v177, 0x3f06c442, v43
	v_add_f32_e32 v6, v46, v6
	v_mul_f32_e32 v153, 0xbf06c442, v145
	v_fmamk_f32 v46, v69, 0xbf1a4643, v137
	v_add_f32_e32 v5, v5, v8
	v_fmamk_f32 v47, v53, 0xbf59a7d5, v177
	v_mul_f32_e32 v172, 0x3f2c7751, v45
	v_fma_f32 v7, 0xbf59a7d5, v65, -v153
	v_mul_f32_e32 v151, 0x3f4c4adb, v152
	v_add_f32_e32 v4, v46, v4
	v_add_f32_e32 v5, v47, v5
	v_fmamk_f32 v46, v55, 0x3f3d2fb0, v172
	v_mul_f32_e32 v182, 0xbf763a35, v44
	v_add_f32_e32 v6, v7, v6
	v_fma_f32 v7, 0xbf1a4643, v70, -v151
	v_mul_f32_e32 v170, 0xbf65296c, v49
	v_add_f32_e32 v5, v46, v5
	v_fma_f32 v46, 0xbe8c1d8e, v52, -v182
	v_mul_f32_e32 v183, 0x3f06c442, v48
	v_add_f32_e32 v7, v7, v6
	v_fmamk_f32 v6, v57, 0x3ee437d1, v170
	v_mul_f32_e32 v174, 0xbe3c28d5, v123
	v_add_f32_e32 v46, v46, v9
	v_fma_f32 v47, 0xbf59a7d5, v54, -v183
	v_mul_f32_e32 v180, 0x3f2c7751, v122
	v_mul_f32_e32 v141, 0x3f2c7751, v154
	v_add_f32_e32 v5, v6, v5
	v_fmamk_f32 v6, v60, 0xbf7ba420, v174
	v_mul_f32_e32 v173, 0x3f7ee86f, v125
	v_add_f32_e32 v46, v47, v46
	v_fma_f32 v47, 0x3f3d2fb0, v56, -v180
	v_mul_f32_e32 v179, 0xbf65296c, v124
	v_fmamk_f32 v94, v76, 0x3f3d2fb0, v141
	v_add_f32_e32 v5, v6, v5
	v_fmamk_f32 v6, v64, 0x3dbcf732, v173
	v_add_f32_e32 v46, v47, v46
	v_fma_f32 v47, 0x3ee437d1, v61, -v179
	v_mul_f32_e32 v178, 0xbe3c28d5, v126
	v_mul_f32_e32 v175, 0xbeb8f4ab, v140
	v_add_f32_e32 v5, v6, v5
	v_add_f32_e32 v6, v94, v4
	;; [unrolled: 1-line block ×3, first 2 shown]
	v_fma_f32 v46, 0xbf7ba420, v62, -v178
	v_mul_f32_e32 v187, 0xbf4c4adb, v42
	v_mul_f32_e32 v191, 0xbf4c4adb, v44
	v_fmamk_f32 v129, v69, 0x3f6eb680, v175
	v_mul_f32_e32 v181, 0x3f7ee86f, v145
	v_add_f32_e32 v4, v46, v4
	v_fmamk_f32 v46, v51, 0xbf1a4643, v187
	v_mul_f32_e32 v188, 0x3f763a35, v43
	v_fma_f32 v94, 0xbf1a4643, v52, -v191
	v_mul_f32_e32 v193, 0x3f763a35, v48
	v_add_f32_e32 v5, v129, v5
	v_fma_f32 v129, 0x3dbcf732, v65, -v181
	v_add_f32_e32 v46, v46, v8
	v_fmamk_f32 v134, v53, 0xbe8c1d8e, v188
	v_add_f32_e32 v94, v94, v9
	v_fma_f32 v136, 0xbe8c1d8e, v54, -v193
	v_mul_f32_e32 v189, 0xbeb8f4ab, v45
	v_mul_f32_e32 v197, 0xbeb8f4ab, v122
	v_add_f32_e32 v4, v129, v4
	v_add_f32_e32 v46, v134, v46
	;; [unrolled: 1-line block ×3, first 2 shown]
	v_fmamk_f32 v129, v55, 0x3f6eb680, v189
	v_fma_f32 v134, 0x3f6eb680, v56, -v197
	v_mul_f32_e32 v190, 0xbf06c442, v49
	v_mul_f32_e32 v198, 0xbf06c442, v124
	;; [unrolled: 1-line block ×3, first 2 shown]
	v_add_f32_e32 v46, v129, v46
	v_add_f32_e32 v94, v134, v94
	v_fmamk_f32 v129, v57, 0xbf59a7d5, v190
	v_fma_f32 v134, 0xbf59a7d5, v61, -v198
	v_mul_f32_e32 v192, 0x3f7ee86f, v123
	v_mul_f32_e32 v199, 0x3f7ee86f, v126
	v_fma_f32 v136, 0x3f6eb680, v70, -v184
	v_add_f32_e32 v46, v129, v46
	v_add_f32_e32 v94, v134, v94
	v_fmamk_f32 v129, v60, 0x3dbcf732, v192
	v_fma_f32 v134, 0x3dbcf732, v62, -v199
	v_mul_f32_e32 v194, 0xbf2c7751, v125
	v_mul_f32_e32 v200, 0xbf2c7751, v145
	v_add_f32_e32 v136, v136, v4
	v_add_f32_e32 v4, v129, v46
	v_add_f32_e32 v46, v134, v94
	v_fmamk_f32 v94, v64, 0x3f3d2fb0, v194
	v_fma_f32 v129, 0x3f3d2fb0, v65, -v200
	v_mul_f32_e32 v195, 0xbe3c28d5, v140
	v_mul_f32_e32 v201, 0xbe3c28d5, v152
	;; [unrolled: 1-line block ×5, first 2 shown]
	v_add_f32_e32 v4, v94, v4
	v_add_f32_e32 v46, v129, v46
	v_fmamk_f32 v94, v69, 0xbf7ba420, v195
	v_fma_f32 v129, 0xbf7ba420, v70, -v201
	v_mul_f32_e32 v186, 0x3f65296c, v154
	v_mul_f32_e32 v196, 0x3f65296c, v158
	v_fma_f32 v127, 0x3f3d2fb0, v77, -v156
	v_fmamk_f32 v47, v76, 0xbf1a4643, v171
	v_fma_f32 v134, 0xbf1a4643, v77, -v185
	v_add_f32_e32 v94, v94, v4
	v_add_f32_e32 v129, v129, v46
	v_fmamk_f32 v46, v76, 0x3ee437d1, v186
	v_fma_f32 v138, 0x3ee437d1, v77, -v196
	v_add_f32_e32 v7, v127, v7
	v_add_f32_e32 v4, v47, v5
	;; [unrolled: 1-line block ×5, first 2 shown]
	v_mul_lo_u16 v94, v92, 17
	s_barrier
	buffer_gl0_inv
	s_and_saveexec_b32 s4, vcc_lo
	s_cbranch_execz .LBB0_7
; %bb.6:
	v_mul_f32_e32 v149, 0xbe3c28d5, v44
	v_mul_f32_e32 v146, 0xbe3c28d5, v42
	v_mul_f32_e32 v155, 0x3eb8f4ab, v48
	v_mul_f32_e32 v127, 0x3eb8f4ab, v43
	v_mul_f32_e32 v159, 0xbf06c442, v122
	v_fmamk_f32 v134, v52, 0xbf7ba420, v149
	v_fma_f32 v136, 0xbf7ba420, v51, -v146
	v_mul_f32_e32 v129, 0xbf06c442, v45
	v_fmamk_f32 v138, v54, 0x3f6eb680, v155
	v_fma_f32 v150, 0x3f6eb680, v53, -v127
	v_add_f32_e32 v139, v134, v9
	v_add_f32_e32 v136, v136, v8
	v_mul_f32_e32 v160, 0x3f2c7751, v124
	v_mul_f32_e32 v134, 0x3f2c7751, v49
	v_fmamk_f32 v157, v56, 0xbf59a7d5, v159
	v_add_f32_e32 v138, v138, v139
	v_fma_f32 v139, 0xbf59a7d5, v55, -v129
	v_add_f32_e32 v150, v150, v136
	v_mul_f32_e32 v162, 0xbf4c4adb, v126
	v_fmamk_f32 v161, v61, 0x3f3d2fb0, v160
	v_add_f32_e32 v138, v157, v138
	v_mul_f32_e32 v136, 0xbf4c4adb, v123
	v_fma_f32 v157, 0x3f3d2fb0, v57, -v134
	v_add_f32_e32 v139, v139, v150
	v_fmamk_f32 v150, v62, 0xbf1a4643, v162
	v_add_f32_e32 v161, v161, v138
	v_mul_f32_e32 v165, 0x3f65296c, v145
	v_fma_f32 v164, 0xbf1a4643, v60, -v136
	v_add_f32_e32 v139, v157, v139
	v_mul_f32_e32 v138, 0x3f65296c, v125
	v_add_f32_e32 v150, v150, v161
	v_fmamk_f32 v157, v65, 0x3ee437d1, v165
	v_mul_f32_e32 v163, 0xbf763a35, v152
	v_add_f32_e32 v164, v164, v139
	v_fma_f32 v166, 0x3ee437d1, v64, -v138
	v_mul_f32_e32 v139, 0xbf763a35, v140
	v_add_f32_e32 v150, v157, v150
	v_fmamk_f32 v157, v70, 0xbe8c1d8e, v163
	v_mul_f32_e32 v161, 0xbf06c442, v44
	v_add_f32_e32 v44, v166, v164
	v_fma_f32 v164, 0xbe8c1d8e, v69, -v139
	v_mul_f32_e32 v122, 0xbf7ee86f, v122
	v_add_f32_e32 v169, v157, v150
	v_fmamk_f32 v166, v52, 0xbf59a7d5, v161
	v_mul_f32_e32 v157, 0x3f65296c, v48
	v_add_f32_e32 v44, v164, v44
	v_mul_f32_e32 v164, 0xbf06c442, v42
	v_mul_f32_e32 v124, 0x3f4c4adb, v124
	v_add_f32_e32 v42, v166, v9
	v_fmamk_f32 v48, v54, 0x3ee437d1, v157
	v_mul_f32_e32 v166, 0x3f65296c, v43
	v_fma_f32 v167, 0xbf59a7d5, v51, -v164
	v_fmamk_f32 v43, v56, 0x3dbcf732, v122
	v_mul_f32_e32 v150, 0x3f7ee86f, v158
	v_add_f32_e32 v42, v48, v42
	v_fma_f32 v168, 0x3ee437d1, v53, -v166
	v_add_f32_e32 v48, v167, v8
	v_mul_f32_e32 v167, 0xbf7ee86f, v45
	v_mul_f32_e32 v126, 0xbeb8f4ab, v126
	v_add_f32_e32 v42, v43, v42
	v_fmamk_f32 v43, v61, 0xbf1a4643, v124
	v_add_f32_e32 v45, v168, v48
	v_fma_f32 v48, 0x3dbcf732, v55, -v167
	v_mul_f32_e32 v168, 0x3f4c4adb, v49
	v_fmamk_f32 v202, v77, 0x3dbcf732, v150
	v_add_f32_e32 v42, v43, v42
	v_fmamk_f32 v49, v62, 0x3f6eb680, v126
	v_mul_f32_e32 v145, 0xbe3c28d5, v145
	v_add_f32_e32 v45, v48, v45
	v_fma_f32 v48, 0xbf1a4643, v57, -v168
	v_mul_f32_e32 v123, 0xbeb8f4ab, v123
	v_add_f32_e32 v43, v202, v169
	v_add_f32_e32 v42, v49, v42
	v_fmamk_f32 v49, v65, 0xbf7ba420, v145
	v_add_f32_e32 v45, v48, v45
	v_fma_f32 v48, 0x3f6eb680, v60, -v123
	v_mul_f32_e32 v169, 0xbe3c28d5, v125
	v_mul_f32_e32 v152, 0x3f2c7751, v152
	;; [unrolled: 1-line block ×3, first 2 shown]
	v_add_f32_e32 v42, v49, v42
	v_add_f32_e32 v45, v48, v45
	v_fma_f32 v48, 0xbf7ba420, v64, -v169
	v_mul_f32_e32 v140, 0x3f2c7751, v140
	v_fmamk_f32 v49, v70, 0x3f3d2fb0, v152
	v_mul_f32_e32 v158, 0xbf763a35, v158
	v_fma_f32 v202, 0x3dbcf732, v76, -v125
	v_add_f32_e32 v45, v48, v45
	v_fma_f32 v48, 0x3f3d2fb0, v69, -v140
	v_add_f32_e32 v49, v49, v42
	v_fmamk_f32 v203, v77, 0xbe8c1d8e, v158
	v_add_f32_e32 v42, v202, v44
	v_add_f32_e32 v10, v10, v8
	;; [unrolled: 1-line block ×3, first 2 shown]
	v_mul_f32_e32 v48, 0xbf1a4643, v52
	v_add_f32_e32 v45, v203, v49
	v_mul_f32_e32 v49, 0xbf1a4643, v51
	v_mul_f32_e32 v203, 0xbe8c1d8e, v54
	v_add_f32_e32 v10, v32, v10
	v_add_f32_e32 v48, v191, v48
	v_mul_f32_e32 v191, 0xbe8c1d8e, v53
	v_sub_f32_e32 v49, v49, v187
	v_add_f32_e32 v187, v193, v203
	v_mul_f32_e32 v193, 0x3f6eb680, v56
	v_add_f32_e32 v48, v48, v9
	v_sub_f32_e32 v188, v191, v188
	v_add_f32_e32 v49, v49, v8
	v_mul_f32_e32 v191, 0x3f6eb680, v55
	v_add_f32_e32 v10, v34, v10
	v_add_f32_e32 v48, v187, v48
	;; [unrolled: 1-line block ×3, first 2 shown]
	v_mul_f32_e32 v193, 0xbf59a7d5, v61
	v_add_f32_e32 v49, v188, v49
	v_sub_f32_e32 v188, v191, v189
	v_mul_f32_e32 v189, 0xbf59a7d5, v57
	v_add_f32_e32 v48, v187, v48
	v_add_f32_e32 v187, v198, v193
	v_mul_f32_e32 v191, 0x3dbcf732, v62
	v_add_f32_e32 v49, v188, v49
	v_sub_f32_e32 v188, v189, v190
	v_mul_f32_e32 v189, 0x3dbcf732, v60
	v_add_f32_e32 v48, v187, v48
	v_add_f32_e32 v187, v199, v191
	;; [unrolled: 6-line block ×5, first 2 shown]
	v_mul_f32_e32 v190, 0xbf59a7d5, v54
	v_add_f32_e32 v188, v188, v49
	v_add_f32_e32 v49, v182, v189
	v_mul_f32_e32 v182, 0xbe8c1d8e, v51
	v_mul_f32_e32 v189, 0x3ee437d1, v76
	v_add_f32_e32 v183, v183, v190
	v_mul_f32_e32 v190, 0xbf59a7d5, v53
	v_add_f32_e32 v49, v49, v9
	v_sub_f32_e32 v176, v182, v176
	v_sub_f32_e32 v182, v189, v186
	v_mul_f32_e32 v186, 0x3f3d2fb0, v56
	v_sub_f32_e32 v177, v190, v177
	v_add_f32_e32 v183, v183, v49
	v_add_f32_e32 v176, v176, v8
	v_mul_f32_e32 v189, 0x3f3d2fb0, v55
	v_add_f32_e32 v180, v180, v186
	v_add_f32_e32 v49, v187, v48
	v_mul_f32_e32 v48, 0x3ee437d1, v61
	v_add_f32_e32 v176, v177, v176
	v_sub_f32_e32 v172, v189, v172
	v_add_f32_e32 v177, v180, v183
	v_mul_f32_e32 v180, 0x3ee437d1, v57
	v_add_f32_e32 v179, v179, v48
	v_add_f32_e32 v48, v182, v188
	v_mul_f32_e32 v182, 0xbf7ba420, v62
	v_add_f32_e32 v172, v172, v176
	v_sub_f32_e32 v170, v180, v170
	v_add_f32_e32 v176, v179, v177
	v_mul_f32_e32 v177, 0xbf7ba420, v60
	v_add_f32_e32 v178, v178, v182
	v_mul_f32_e32 v182, 0xbf1a4643, v76
	;; [unrolled: 2-line block ×3, first 2 shown]
	v_sub_f32_e32 v174, v177, v174
	v_add_f32_e32 v176, v178, v176
	v_mul_f32_e32 v178, 0x3dbcf732, v64
	v_sub_f32_e32 v171, v182, v171
	v_add_f32_e32 v172, v181, v172
	v_add_f32_e32 v170, v174, v170
	v_mul_f32_e32 v174, 0x3f6eb680, v70
	v_sub_f32_e32 v173, v178, v173
	v_mul_f32_e32 v180, 0x3f3d2fb0, v51
	v_add_f32_e32 v172, v172, v176
	v_mul_f32_e32 v176, 0x3f6eb680, v69
	v_add_f32_e32 v174, v184, v174
	v_add_f32_e32 v170, v173, v170
	v_mul_f32_e32 v173, 0xbf1a4643, v77
	v_sub_f32_e32 v90, v180, v90
	v_sub_f32_e32 v175, v176, v175
	v_add_f32_e32 v172, v174, v172
	v_mul_f32_e32 v174, 0x3dbcf732, v52
	v_add_f32_e32 v173, v185, v173
	v_add_f32_e32 v90, v90, v8
	v_add_f32_e32 v170, v175, v170
	v_mul_f32_e32 v175, 0xbf7ba420, v54
	v_add_f32_e32 v147, v147, v174
	v_mul_f32_e32 v174, 0x3dbcf732, v51
	v_add_f32_e32 v10, v36, v10
	;; [unrolled: 2-line block ×3, first 2 shown]
	v_add_f32_e32 v184, v147, v9
	v_add_f32_e32 v147, v171, v170
	v_mul_f32_e32 v171, 0xbe8c1d8e, v56
	v_add_f32_e32 v148, v173, v172
	v_mul_f32_e32 v170, 0x3dbcf732, v53
	;; [unrolled: 2-line block ×4, first 2 shown]
	v_sub_f32_e32 v96, v170, v96
	v_sub_f32_e32 v128, v174, v128
	;; [unrolled: 1-line block ×3, first 2 shown]
	v_add_f32_e32 v142, v142, v172
	v_add_f32_e32 v143, v143, v171
	;; [unrolled: 1-line block ×4, first 2 shown]
	v_mul_f32_e32 v172, 0xbe8c1d8e, v55
	v_mul_f32_e32 v171, 0xbf1a4643, v54
	v_add_f32_e32 v142, v143, v142
	v_mul_f32_e32 v143, 0x3f6eb680, v57
	v_add_f32_e32 v128, v135, v128
	v_mul_f32_e32 v135, 0x3ee437d1, v62
	v_sub_f32_e32 v130, v172, v130
	v_add_f32_e32 v120, v120, v176
	v_sub_f32_e32 v131, v143, v131
	v_mul_f32_e32 v143, 0xbf1a4643, v55
	v_add_f32_e32 v135, v144, v135
	v_add_f32_e32 v128, v130, v128
	v_mul_f32_e32 v130, 0xbf59a7d5, v65
	v_add_f32_e32 v121, v121, v171
	v_sub_f32_e32 v96, v143, v97
	v_add_f32_e32 v135, v135, v142
	v_mul_f32_e32 v142, 0x3ee437d1, v60
	v_add_f32_e32 v130, v153, v130
	v_add_f32_e32 v128, v131, v128
	;; [unrolled: 1-line block ×4, first 2 shown]
	v_sub_f32_e32 v132, v142, v132
	v_add_f32_e32 v130, v130, v135
	v_mul_f32_e32 v135, 0xbf59a7d5, v64
	v_mul_f32_e32 v131, 0xbf1a4643, v70
	v_add_f32_e32 v33, v33, v96
	v_add_f32_e32 v128, v132, v128
	v_mul_f32_e32 v132, 0x3f3d2fb0, v77
	v_sub_f32_e32 v133, v135, v133
	v_add_f32_e32 v131, v151, v131
	v_add_f32_e32 v33, v35, v33
	v_mul_f32_e32 v151, 0xbf7ba420, v56
	v_add_f32_e32 v132, v156, v132
	v_mul_f32_e32 v156, 0xbf1a4643, v69
	v_add_f32_e32 v128, v133, v128
	v_add_f32_e32 v33, v37, v33
	;; [unrolled: 1-line block ×3, first 2 shown]
	v_mul_f32_e32 v177, 0x3f6eb680, v52
	v_sub_f32_e32 v137, v156, v137
	v_mul_f32_e32 v133, 0xbf7ba420, v57
	v_add_f32_e32 v33, v39, v33
	v_add_f32_e32 v121, v121, v120
	;; [unrolled: 1-line block ×4, first 2 shown]
	v_mul_f32_e32 v137, 0xbe8c1d8e, v61
	v_add_f32_e32 v29, v29, v33
	v_add_f32_e32 v33, v38, v10
	v_mul_f32_e32 v183, 0x3f3d2fb0, v54
	v_mul_f32_e32 v184, 0xbf59a7d5, v60
	v_add_f32_e32 v121, v151, v121
	v_add_f32_e32 v29, v31, v29
	;; [unrolled: 1-line block ×5, first 2 shown]
	v_sub_f32_e32 v95, v133, v95
	v_add_f32_e32 v25, v25, v29
	v_add_f32_e32 v28, v30, v28
	v_mul_f32_e32 v144, 0x3ee437d1, v56
	v_mul_f32_e32 v142, 0xbf7ba420, v55
	v_add_f32_e32 v118, v118, v121
	v_add_f32_e32 v25, v27, v25
	;; [unrolled: 1-line block ×3, first 2 shown]
	v_mul_f32_e32 v121, 0xbe8c1d8e, v64
	v_add_f32_e32 v68, v68, v9
	v_add_f32_e32 v67, v67, v183
	;; [unrolled: 1-line block ×4, first 2 shown]
	v_fma_f32 v26, 0xbf7ba420, v52, -v149
	v_add_f32_e32 v90, v95, v90
	v_sub_f32_e32 v88, v184, v88
	v_add_f32_e32 v21, v23, v21
	v_add_f32_e32 v20, v20, v25
	;; [unrolled: 1-line block ×3, first 2 shown]
	v_fma_f32 v25, 0x3f6eb680, v54, -v155
	v_mul_f32_e32 v153, 0xbf1a4643, v56
	v_sub_f32_e32 v113, v142, v113
	v_mul_f32_e32 v142, 0x3ee437d1, v69
	v_add_f32_e32 v67, v67, v68
	v_add_f32_e32 v68, v71, v144
	;; [unrolled: 1-line block ×3, first 2 shown]
	v_sub_f32_e32 v86, v121, v86
	v_add_f32_e32 v17, v17, v21
	v_add_f32_e32 v20, v22, v20
	;; [unrolled: 1-line block ×3, first 2 shown]
	v_fma_f32 v22, 0xbf59a7d5, v56, -v159
	v_add_f32_e32 v98, v98, v153
	v_mul_f32_e32 v153, 0x3f6eb680, v76
	v_add_f32_e32 v32, v68, v67
	v_add_f32_e32 v67, v86, v71
	v_sub_f32_e32 v34, v142, v87
	v_add_f32_e32 v17, v19, v17
	v_add_f32_e32 v16, v16, v20
	;; [unrolled: 1-line block ×3, first 2 shown]
	v_fma_f32 v20, 0x3f3d2fb0, v61, -v160
	v_mul_f32_e32 v179, 0x3f6eb680, v51
	v_add_f32_e32 v34, v34, v67
	v_sub_f32_e32 v36, v153, v89
	v_add_f32_e32 v13, v13, v17
	v_add_f32_e32 v16, v18, v16
	;; [unrolled: 1-line block ×3, first 2 shown]
	v_fma_f32 v18, 0xbf1a4643, v62, -v162
	v_mul_f32_e32 v178, 0x3f3d2fb0, v52
	v_mul_f32_e32 v181, 0x3ee437d1, v51
	v_add_f32_e32 v130, v131, v130
	v_mul_f32_e32 v182, 0x3f3d2fb0, v53
	v_add_f32_e32 v10, v36, v34
	v_sub_f32_e32 v34, v179, v59
	v_add_f32_e32 v13, v15, v13
	v_add_f32_e32 v12, v12, v16
	;; [unrolled: 1-line block ×3, first 2 shown]
	v_fma_f32 v16, 0x3ee437d1, v65, -v165
	v_fmac_f32_e32 v146, 0xbf7ba420, v51
	v_mul_f32_e32 v174, 0x3dbcf732, v54
	v_mul_f32_e32 v173, 0xbf1a4643, v53
	v_add_f32_e32 v120, v132, v130
	v_mul_f32_e32 v132, 0x3f3d2fb0, v62
	v_sub_f32_e32 v112, v181, v112
	v_add_f32_e32 v101, v101, v178
	v_mul_f32_e32 v172, 0x3ee437d1, v55
	v_add_f32_e32 v33, v34, v8
	v_sub_f32_e32 v29, v182, v58
	v_add_f32_e32 v12, v14, v12
	v_add_f32_e32 v14, v16, v15
	v_fma_f32 v15, 0xbe8c1d8e, v70, -v163
	v_add_f32_e32 v16, v146, v8
	v_fmac_f32_e32 v127, 0x3f6eb680, v53
	v_fma_f32 v17, 0xbf59a7d5, v52, -v161
	v_fmac_f32_e32 v164, 0xbf59a7d5, v51
	v_mul_f32_e32 v156, 0x3f3d2fb0, v76
	v_add_f32_e32 v117, v117, v132
	v_add_f32_e32 v112, v112, v8
	v_sub_f32_e32 v111, v173, v111
	v_add_f32_e32 v102, v102, v174
	v_add_f32_e32 v101, v101, v9
	v_mul_f32_e32 v135, 0x3dbcf732, v57
	v_mul_f32_e32 v131, 0x3dbcf732, v61
	v_add_f32_e32 v28, v29, v33
	v_sub_f32_e32 v29, v172, v63
	v_add_f32_e32 v14, v15, v14
	v_add_f32_e32 v15, v127, v16
	;; [unrolled: 1-line block ×3, first 2 shown]
	v_fma_f32 v16, 0x3ee437d1, v54, -v157
	v_add_f32_e32 v8, v164, v8
	v_fmac_f32_e32 v166, 0x3ee437d1, v53
	v_mul_f32_e32 v175, 0xbf7ba420, v61
	v_mul_f32_e32 v171, 0xbe8c1d8e, v57
	v_sub_f32_e32 v141, v156, v141
	v_add_f32_e32 v117, v117, v118
	v_mul_f32_e32 v118, 0x3f6eb680, v65
	v_add_f32_e32 v111, v111, v112
	v_add_f32_e32 v101, v102, v101
	v_fmac_f32_e32 v129, 0xbf59a7d5, v55
	v_mul_f32_e32 v156, 0xbe8c1d8e, v60
	v_mul_f32_e32 v176, 0xbe8c1d8e, v62
	v_add_f32_e32 v35, v78, v131
	v_add_f32_e32 v27, v29, v28
	v_sub_f32_e32 v28, v135, v66
	v_add_f32_e32 v9, v16, v9
	v_fma_f32 v16, 0x3dbcf732, v56, -v122
	v_add_f32_e32 v8, v166, v8
	v_fmac_f32_e32 v167, 0x3dbcf732, v55
	v_add_f32_e32 v119, v141, v128
	v_mul_f32_e32 v128, 0xbf59a7d5, v62
	v_mul_f32_e32 v130, 0x3f3d2fb0, v60
	v_add_f32_e32 v116, v116, v118
	v_add_f32_e32 v111, v113, v111
	v_mul_f32_e32 v113, 0x3dbcf732, v70
	v_sub_f32_e32 v110, v171, v110
	v_add_f32_e32 v98, v98, v101
	v_add_f32_e32 v99, v99, v175
	;; [unrolled: 1-line block ×3, first 2 shown]
	v_fmac_f32_e32 v134, 0x3f3d2fb0, v57
	v_mul_f32_e32 v137, 0xbf1a4643, v64
	v_mul_f32_e32 v141, 0xbf1a4643, v65
	v_add_f32_e32 v32, v35, v32
	v_add_f32_e32 v35, v80, v176
	;; [unrolled: 1-line block ×3, first 2 shown]
	v_sub_f32_e32 v27, v156, v75
	v_add_f32_e32 v9, v16, v9
	v_fma_f32 v16, 0xbf1a4643, v61, -v124
	v_add_f32_e32 v8, v167, v8
	v_fmac_f32_e32 v168, 0xbf1a4643, v57
	v_mul_f32_e32 v132, 0xbe8c1d8e, v65
	v_mul_f32_e32 v151, 0x3f6eb680, v64
	v_add_f32_e32 v116, v116, v117
	v_add_f32_e32 v113, v114, v113
	;; [unrolled: 1-line block ×3, first 2 shown]
	v_mul_f32_e32 v111, 0xbf59a7d5, v77
	v_sub_f32_e32 v108, v130, v108
	v_add_f32_e32 v99, v99, v98
	v_add_f32_e32 v103, v103, v128
	;; [unrolled: 1-line block ×3, first 2 shown]
	v_fmac_f32_e32 v136, 0xbf1a4643, v60
	v_mul_f32_e32 v112, 0xbf59a7d5, v69
	v_mul_f32_e32 v173, 0xbf59a7d5, v70
	v_add_f32_e32 v32, v35, v32
	v_add_f32_e32 v35, v81, v141
	;; [unrolled: 1-line block ×3, first 2 shown]
	v_sub_f32_e32 v25, v137, v79
	v_add_f32_e32 v9, v16, v9
	v_fma_f32 v16, 0x3f6eb680, v62, -v126
	v_add_f32_e32 v8, v168, v8
	v_fmac_f32_e32 v123, 0x3f6eb680, v60
	v_mul_f32_e32 v174, 0x3ee437d1, v70
	v_mul_f32_e32 v118, 0x3dbcf732, v69
	v_add_f32_e32 v101, v113, v116
	v_add_f32_e32 v111, v115, v111
	;; [unrolled: 1-line block ×3, first 2 shown]
	v_sub_f32_e32 v109, v151, v109
	v_add_f32_e32 v99, v103, v99
	v_add_f32_e32 v100, v100, v132
	;; [unrolled: 1-line block ×3, first 2 shown]
	v_fmac_f32_e32 v138, 0x3ee437d1, v64
	v_mul_f32_e32 v171, 0xbf7ba420, v76
	v_mul_f32_e32 v102, 0xbf7ba420, v77
	v_add_f32_e32 v31, v35, v32
	v_add_f32_e32 v32, v84, v173
	;; [unrolled: 1-line block ×3, first 2 shown]
	v_sub_f32_e32 v22, v112, v82
	v_add_f32_e32 v9, v16, v9
	v_fma_f32 v16, 0xbf7ba420, v65, -v145
	v_add_f32_e32 v8, v123, v8
	v_fmac_f32_e32 v169, 0xbf7ba420, v64
	v_mul_f32_e32 v117, 0x3f6eb680, v77
	v_mul_f32_e32 v114, 0xbf59a7d5, v76
	v_add_f32_e32 v98, v111, v101
	v_add_f32_e32 v101, v109, v108
	v_sub_f32_e32 v106, v118, v106
	v_add_f32_e32 v99, v100, v99
	v_add_f32_e32 v100, v104, v174
	v_mul_f32_e32 v154, 0xbf763a35, v154
	v_add_f32_e32 v15, v138, v15
	v_fmac_f32_e32 v139, 0xbe8c1d8e, v69
	v_add_f32_e32 v30, v32, v31
	v_add_f32_e32 v31, v85, v102
	;; [unrolled: 1-line block ×3, first 2 shown]
	v_sub_f32_e32 v20, v171, v83
	v_add_f32_e32 v9, v16, v9
	v_fma_f32 v16, 0x3f3d2fb0, v70, -v152
	v_add_f32_e32 v8, v169, v8
	v_fmac_f32_e32 v140, 0x3f3d2fb0, v69
	v_and_b32_e32 v18, 0xffff, v94
	v_add_f32_e32 v101, v106, v101
	v_sub_f32_e32 v103, v114, v107
	v_add_f32_e32 v99, v100, v99
	v_add_f32_e32 v100, v105, v117
	v_fma_f32 v202, 0xbe8c1d8e, v76, -v154
	v_fma_f32 v17, 0x3dbcf732, v77, -v150
	v_add_f32_e32 v15, v139, v15
	v_fmac_f32_e32 v125, 0x3dbcf732, v76
	v_add_f32_e32 v24, v31, v30
	v_add_f32_e32 v23, v20, v19
	v_add_f32_e32 v13, v41, v13
	v_add_f32_e32 v12, v40, v12
	v_add_f32_e32 v16, v16, v9
	v_fma_f32 v19, 0xbe8c1d8e, v77, -v158
	v_add_f32_e32 v20, v140, v8
	v_fmac_f32_e32 v154, 0xbe8c1d8e, v76
	v_add_lshl_u32 v18, v50, v18, 3
	v_add_f32_e32 v97, v103, v101
	v_add_f32_e32 v11, v100, v99
	;; [unrolled: 1-line block ×7, first 2 shown]
	ds_write2_b64 v18, v[12:13], v[23:24] offset1:1
	ds_write2_b64 v18, v[10:11], v[97:98] offset0:2 offset1:3
	ds_write2_b64 v18, v[119:120], v[147:148] offset0:4 offset1:5
	;; [unrolled: 1-line block ×7, first 2 shown]
	ds_write_b64 v18, v[73:74] offset:128
.LBB0_7:
	s_or_b32 exec_lo, exec_lo, s4
	v_and_b32_e32 v8, 0xff, v92
	v_mov_b32_e32 v9, 10
	s_load_dwordx4 s[4:7], s[0:1], 0x0
	s_waitcnt lgkmcnt(0)
	s_barrier
	v_mul_lo_u16 v8, 0xf1, v8
	buffer_gl0_inv
	v_add_lshl_u32 v95, v50, v92, 3
	v_mov_b32_e32 v41, 0xbb
	v_cmp_gt_u16_e64 s0, 0x55, v92
	v_lshrrev_b16 v40, 12, v8
	v_add_nc_u32_e32 v32, 0x400, v95
	v_add_nc_u32_e32 v36, 0x800, v95
	;; [unrolled: 1-line block ×3, first 2 shown]
	v_mul_lo_u16 v8, v40, 17
	v_mul_u32_u24_sdwa v45, v40, v41 dst_sel:DWORD dst_unused:UNUSED_PAD src0_sel:WORD_0 src1_sel:DWORD
	v_add_nc_u32_e32 v48, 0x1800, v95
	v_add_nc_u32_e32 v56, 0xa00, v95
	;; [unrolled: 1-line block ×3, first 2 shown]
	v_sub_nc_u16 v44, v92, v8
	v_mul_u32_u24_sdwa v8, v44, v9 dst_sel:DWORD dst_unused:UNUSED_PAD src0_sel:BYTE_0 src1_sel:DWORD
	v_add_nc_u32_sdwa v49, v45, v44 dst_sel:DWORD dst_unused:UNUSED_PAD src0_sel:DWORD src1_sel:BYTE_0
	v_lshlrev_b32_e32 v16, 3, v8
	v_add_lshl_u32 v97, v50, v49, 3
	s_clause 0x4
	global_load_dwordx4 v[24:27], v16, s[2:3]
	global_load_dwordx4 v[20:23], v16, s[2:3] offset:16
	global_load_dwordx4 v[12:15], v16, s[2:3] offset:32
	;; [unrolled: 1-line block ×4, first 2 shown]
	ds_read2_b64 v[28:31], v95 offset1:102
	ds_read2_b64 v[32:35], v32 offset0:76 offset1:178
	ds_read2_b64 v[36:39], v36 offset0:152 offset1:254
	;; [unrolled: 1-line block ×3, first 2 shown]
	ds_read_b64 v[44:45], v95 offset:8160
	ds_read2_b64 v[51:54], v48 offset0:48 offset1:150
	s_waitcnt vmcnt(0) lgkmcnt(0)
	s_barrier
	buffer_gl0_inv
	v_mul_f32_e32 v48, v31, v25
	v_mul_f32_e32 v49, v30, v25
	;; [unrolled: 1-line block ×13, first 2 shown]
	v_fma_f32 v30, v30, v24, -v48
	v_fmac_f32_e32 v49, v31, v24
	v_mul_f32_e32 v60, v37, v23
	v_mul_f32_e32 v61, v36, v23
	;; [unrolled: 1-line block ×7, first 2 shown]
	v_fma_f32 v31, v32, v26, -v50
	v_fmac_f32_e32 v55, v33, v26
	v_fma_f32 v32, v34, v20, -v58
	v_fmac_f32_e32 v59, v35, v20
	;; [unrolled: 2-line block ×4, first 2 shown]
	v_fma_f32 v38, v53, v16, -v70
	v_fma_f32 v39, v44, v18, -v75
	v_fmac_f32_e32 v76, v45, v18
	v_add_f32_e32 v40, v28, v30
	v_add_f32_e32 v41, v29, v49
	v_fma_f32 v33, v36, v22, -v60
	v_fmac_f32_e32 v61, v37, v22
	v_fma_f32 v36, v42, v8, -v66
	v_fmac_f32_e32 v67, v43, v8
	;; [unrolled: 2-line block ×3, first 2 shown]
	v_fmac_f32_e32 v71, v54, v16
	v_add_f32_e32 v42, v30, v39
	v_add_f32_e32 v43, v49, v76
	v_sub_f32_e32 v30, v30, v39
	v_sub_f32_e32 v44, v49, v76
	v_add_f32_e32 v45, v31, v38
	v_sub_f32_e32 v49, v31, v38
	v_add_f32_e32 v31, v40, v31
	v_add_f32_e32 v40, v41, v55
	;; [unrolled: 1-line block ×3, first 2 shown]
	v_sub_f32_e32 v50, v55, v71
	v_add_f32_e32 v51, v32, v37
	v_sub_f32_e32 v53, v32, v37
	v_sub_f32_e32 v54, v59, v69
	;; [unrolled: 1-line block ×6, first 2 shown]
	v_mul_f32_e32 v41, 0xbf0a6770, v44
	v_mul_f32_e32 v55, 0xbf0a6770, v30
	;; [unrolled: 1-line block ×8, first 2 shown]
	v_add_f32_e32 v31, v31, v32
	v_add_f32_e32 v32, v40, v59
	v_mul_f32_e32 v81, 0xbf4178ce, v44
	v_mul_f32_e32 v44, 0xbe903f40, v44
	v_add_f32_e32 v52, v59, v69
	v_add_f32_e32 v58, v33, v36
	;; [unrolled: 1-line block ×5, first 2 shown]
	v_mul_f32_e32 v83, 0xbf68dda4, v50
	v_mul_f32_e32 v84, 0xbf68dda4, v49
	;; [unrolled: 1-line block ×40, first 2 shown]
	v_fma_f32 v40, 0x3f575c64, v42, -v41
	v_fmamk_f32 v59, v43, 0x3f575c64, v55
	v_fmac_f32_e32 v41, 0x3f575c64, v42
	v_fma_f32 v55, 0x3f575c64, v43, -v55
	v_fma_f32 v121, 0x3ed4b147, v42, -v77
	v_fmamk_f32 v122, v43, 0x3ed4b147, v78
	v_fmac_f32_e32 v77, 0x3ed4b147, v42
	v_fma_f32 v78, 0x3ed4b147, v43, -v78
	v_fma_f32 v123, 0xbe11bafb, v42, -v79
	v_fmamk_f32 v124, v43, 0xbe11bafb, v80
	v_fma_f32 v80, 0xbe11bafb, v43, -v80
	v_fmamk_f32 v126, v43, 0xbf27a4f4, v82
	;; [unrolled: 2-line block ×3, first 2 shown]
	v_fma_f32 v30, 0xbf75a155, v43, -v30
	v_add_f32_e32 v31, v31, v33
	v_add_f32_e32 v32, v32, v61
	v_fmac_f32_e32 v79, 0xbe11bafb, v42
	v_fma_f32 v125, 0xbf27a4f4, v42, -v81
	v_fma_f32 v127, 0xbf75a155, v42, -v44
	v_fmac_f32_e32 v81, 0xbf27a4f4, v42
	v_fmac_f32_e32 v44, 0xbf75a155, v42
	v_fma_f32 v42, 0x3ed4b147, v45, -v83
	v_fmamk_f32 v43, v48, 0x3ed4b147, v84
	v_fmac_f32_e32 v83, 0x3ed4b147, v45
	v_fma_f32 v84, 0x3ed4b147, v48, -v84
	v_fma_f32 v129, 0xbf27a4f4, v45, -v85
	v_fmamk_f32 v130, v48, 0xbf27a4f4, v86
	v_fmac_f32_e32 v85, 0xbf27a4f4, v45
	v_fma_f32 v86, 0xbf27a4f4, v48, -v86
	;; [unrolled: 4-line block ×20, first 2 shown]
	v_add_f32_e32 v33, v28, v40
	v_add_f32_e32 v40, v29, v59
	;; [unrolled: 1-line block ×110, first 2 shown]
	ds_write2_b64 v97, v[30:31], v[32:33] offset0:34 offset1:51
	v_add_f32_e32 v30, v38, v39
	v_add_f32_e32 v31, v40, v76
	ds_write2_b64 v97, v[34:35], v[36:37] offset0:68 offset1:85
	ds_write2_b64 v97, v[58:59], v[60:61] offset0:102 offset1:119
	;; [unrolled: 1-line block ×3, first 2 shown]
	ds_write_b64 v97, v[44:45] offset:1360
	ds_write2_b64 v97, v[30:31], v[28:29] offset1:17
	s_waitcnt lgkmcnt(0)
	s_barrier
	buffer_gl0_inv
	ds_read2_b64 v[52:55], v95 offset1:187
	ds_read2_b64 v[66:69], v56 offset0:54 offset1:241
	ds_read2_b64 v[62:65], v57 offset0:44 offset1:231
	s_and_saveexec_b32 s1, s0
	s_cbranch_execz .LBB0_9
; %bb.8:
	v_add_nc_u32_e32 v28, 0x200, v95
	v_add_nc_u32_e32 v29, 0xe00, v95
	;; [unrolled: 1-line block ×3, first 2 shown]
	ds_read2_b64 v[58:61], v28 offset0:38 offset1:225
	ds_read2_b64 v[48:51], v29 offset0:28 offset1:215
	;; [unrolled: 1-line block ×3, first 2 shown]
.LBB0_9:
	s_or_b32 exec_lo, exec_lo, s1
	v_mad_u64_u32 v[28:29], null, v92, 40, s[2:3]
	v_lshl_add_u32 v96, v92, 3, v93
	s_clause 0x2
	global_load_dwordx4 v[40:43], v[28:29], off offset:1360
	global_load_dwordx4 v[36:39], v[28:29], off offset:1376
	global_load_dwordx2 v[77:78], v[28:29], off offset:1392
	v_add_nc_u32_e32 v28, 0x66, v92
	v_add_nc_u32_e32 v29, 0xffffffab, v92
	;; [unrolled: 1-line block ×4, first 2 shown]
	v_cndmask_b32_e64 v28, v29, v28, s0
	v_mul_i32_i24_e32 v29, 40, v28
	v_mul_hi_i32_i24_e32 v28, 40, v28
	v_add_co_u32 v56, s1, s2, v29
	v_add_co_ci_u32_e64 v57, s1, s3, v28, s1
	s_clause 0x2
	global_load_dwordx4 v[32:35], v[56:57], off offset:1360
	global_load_dwordx4 v[28:31], v[56:57], off offset:1376
	global_load_dwordx2 v[75:76], v[56:57], off offset:1392
	s_waitcnt vmcnt(5) lgkmcnt(2)
	v_mul_f32_e32 v57, v54, v41
	s_waitcnt lgkmcnt(1)
	v_mul_f32_e32 v71, v66, v43
	s_waitcnt vmcnt(4)
	v_mul_f32_e32 v81, v69, v37
	v_mul_f32_e32 v82, v68, v37
	s_waitcnt lgkmcnt(0)
	v_mul_f32_e32 v84, v62, v39
	s_waitcnt vmcnt(3)
	v_mul_f32_e32 v85, v65, v78
	v_mul_f32_e32 v86, v64, v78
	;; [unrolled: 1-line block ×5, first 2 shown]
	v_fmac_f32_e32 v57, v55, v40
	v_fmac_f32_e32 v71, v67, v42
	v_fma_f32 v55, v68, v36, -v81
	v_fmac_f32_e32 v82, v69, v36
	v_fmac_f32_e32 v84, v63, v38
	v_fma_f32 v63, v64, v77, -v85
	v_fmac_f32_e32 v86, v65, v77
	v_fma_f32 v56, v54, v40, -v56
	v_fma_f32 v54, v66, v42, -v70
	;; [unrolled: 1-line block ×3, first 2 shown]
	v_sub_f32_e32 v66, v71, v84
	v_add_f32_e32 v67, v53, v71
	v_add_f32_e32 v68, v71, v84
	;; [unrolled: 1-line block ×3, first 2 shown]
	v_sub_f32_e32 v71, v82, v86
	v_add_f32_e32 v81, v57, v82
	v_add_f32_e32 v82, v82, v86
	s_waitcnt vmcnt(2)
	v_mul_f32_e32 v88, v48, v35
	s_waitcnt vmcnt(1)
	v_mul_f32_e32 v89, v51, v29
	v_mul_f32_e32 v90, v50, v29
	;; [unrolled: 1-line block ×3, first 2 shown]
	s_waitcnt vmcnt(0)
	v_mul_f32_e32 v100, v47, v76
	v_mul_f32_e32 v101, v46, v76
	v_add_f32_e32 v64, v52, v54
	v_add_f32_e32 v65, v54, v62
	;; [unrolled: 1-line block ×3, first 2 shown]
	v_sub_f32_e32 v55, v55, v63
	v_mul_f32_e32 v83, v61, v33
	v_mul_f32_e32 v85, v60, v33
	;; [unrolled: 1-line block ×4, first 2 shown]
	v_fmac_f32_e32 v56, -0.5, v70
	v_fmac_f32_e32 v57, -0.5, v82
	v_fmac_f32_e32 v88, v49, v34
	v_fma_f32 v50, v50, v28, -v89
	v_fmac_f32_e32 v90, v51, v28
	v_fmac_f32_e32 v99, v45, v30
	v_fma_f32 v45, v46, v75, -v100
	v_fmac_f32_e32 v101, v47, v75
	v_sub_f32_e32 v54, v54, v62
	v_add_f32_e32 v62, v64, v62
	v_fma_f32 v102, -0.5, v65, v52
	v_add_f32_e32 v52, v67, v84
	v_fma_f32 v67, -0.5, v68, v53
	v_add_f32_e32 v53, v69, v63
	v_add_f32_e32 v63, v81, v86
	v_fma_f32 v60, v60, v32, -v83
	v_fmac_f32_e32 v85, v61, v32
	v_fma_f32 v61, v48, v34, -v87
	v_fma_f32 v44, v44, v30, -v98
	v_fmamk_f32 v51, v71, 0x3f5db3d7, v56
	v_fmac_f32_e32 v56, 0xbf5db3d7, v71
	v_fmamk_f32 v64, v55, 0xbf5db3d7, v57
	v_add_f32_e32 v65, v88, v99
	v_add_f32_e32 v68, v50, v45
	;; [unrolled: 1-line block ×3, first 2 shown]
	v_fmamk_f32 v46, v66, 0x3f5db3d7, v102
	v_fmac_f32_e32 v102, 0xbf5db3d7, v66
	v_fmamk_f32 v47, v54, 0xbf5db3d7, v67
	v_fmac_f32_e32 v67, 0x3f5db3d7, v54
	v_fmac_f32_e32 v57, 0x3f5db3d7, v55
	v_add_f32_e32 v48, v62, v53
	v_add_f32_e32 v49, v52, v63
	v_sub_f32_e32 v54, v62, v53
	v_sub_f32_e32 v55, v52, v63
	v_add_f32_e32 v52, v58, v61
	v_add_f32_e32 v53, v61, v44
	;; [unrolled: 1-line block ×3, first 2 shown]
	v_sub_f32_e32 v61, v61, v44
	v_add_f32_e32 v66, v60, v50
	v_sub_f32_e32 v69, v90, v101
	v_add_f32_e32 v70, v85, v90
	v_sub_f32_e32 v50, v50, v45
	v_mul_f32_e32 v81, 0x3f5db3d7, v64
	v_mul_f32_e32 v82, -0.5, v56
	v_fmac_f32_e32 v59, -0.5, v65
	v_fmac_f32_e32 v60, -0.5, v68
	;; [unrolled: 1-line block ×3, first 2 shown]
	v_sub_f32_e32 v62, v88, v99
	v_mul_f32_e32 v83, 0xbf5db3d7, v51
	v_mul_f32_e32 v84, -0.5, v57
	v_add_f32_e32 v44, v52, v44
	v_fmac_f32_e32 v58, -0.5, v53
	v_add_f32_e32 v45, v66, v45
	v_fmac_f32_e32 v81, 0.5, v51
	v_fmac_f32_e32 v82, 0x3f5db3d7, v57
	v_fmamk_f32 v57, v61, 0xbf5db3d7, v59
	v_fmac_f32_e32 v59, 0x3f5db3d7, v61
	v_fmamk_f32 v61, v69, 0x3f5db3d7, v60
	;; [unrolled: 2-line block ×3, first 2 shown]
	v_fmac_f32_e32 v85, 0x3f5db3d7, v50
	v_fmac_f32_e32 v83, 0.5, v64
	v_fmac_f32_e32 v84, 0xbf5db3d7, v56
	v_fmamk_f32 v56, v62, 0x3f5db3d7, v58
	v_fmac_f32_e32 v58, 0xbf5db3d7, v62
	v_add_f32_e32 v64, v44, v45
	v_sub_f32_e32 v62, v44, v45
	v_add_f32_e32 v50, v46, v81
	v_sub_f32_e32 v68, v46, v81
	v_mul_f32_e32 v44, 0x3f5db3d7, v66
	v_mul_f32_e32 v45, -0.5, v60
	v_mul_f32_e32 v46, 0xbf5db3d7, v61
	v_mul_f32_e32 v81, -0.5, v85
	v_add_f32_e32 v52, v63, v99
	v_add_f32_e32 v53, v70, v101
	v_fmac_f32_e32 v44, 0.5, v61
	v_fmac_f32_e32 v45, 0x3f5db3d7, v85
	v_fmac_f32_e32 v46, 0.5, v66
	v_fmac_f32_e32 v81, 0xbf5db3d7, v60
	v_add_f32_e32 v65, v52, v53
	v_sub_f32_e32 v63, v52, v53
	v_add_f32_e32 v52, v102, v82
	v_add_f32_e32 v51, v47, v83
	;; [unrolled: 1-line block ×3, first 2 shown]
	v_sub_f32_e32 v70, v102, v82
	v_sub_f32_e32 v69, v47, v83
	;; [unrolled: 1-line block ×3, first 2 shown]
	v_add_f32_e32 v66, v56, v44
	v_add_f32_e32 v60, v58, v45
	;; [unrolled: 1-line block ×4, first 2 shown]
	v_sub_f32_e32 v56, v56, v44
	v_sub_f32_e32 v58, v58, v45
	;; [unrolled: 1-line block ×4, first 2 shown]
	ds_write2_b64 v96, v[48:49], v[50:51] offset1:187
	ds_write2_b64 v79, v[52:53], v[54:55] offset0:54 offset1:241
	ds_write2_b64 v80, v[68:69], v[70:71] offset0:44 offset1:231
	s_and_saveexec_b32 s1, s0
	s_cbranch_execz .LBB0_11
; %bb.10:
	v_add_nc_u32_e32 v44, 0x200, v96
	v_add_nc_u32_e32 v45, 0xe00, v96
	;; [unrolled: 1-line block ×3, first 2 shown]
	ds_write2_b64 v44, v[64:65], v[66:67] offset0:38 offset1:225
	ds_write2_b64 v45, v[60:61], v[62:63] offset0:28 offset1:215
	ds_write2_b64 v46, v[56:57], v[58:59] offset0:18 offset1:205
.LBB0_11:
	s_or_b32 exec_lo, exec_lo, s1
	s_waitcnt lgkmcnt(0)
	s_barrier
	buffer_gl0_inv
	s_and_saveexec_b32 s2, vcc_lo
	s_cbranch_execz .LBB0_13
; %bb.12:
	v_add_co_u32 v79, s1, s12, v91
	v_add_co_ci_u32_e64 v80, null, s13, 0, s1
	v_add_nc_u32_e32 v152, 0x800, v96
	v_add_co_u32 v44, s1, 0x2310, v79
	v_add_co_ci_u32_e64 v45, s1, 0, v80, s1
	v_add_co_u32 v46, s1, 0x2000, v79
	v_add_co_ci_u32_e64 v47, s1, 0, v80, s1
	s_clause 0x3
	global_load_dwordx2 v[114:115], v[44:45], off offset:528
	global_load_dwordx2 v[116:117], v[44:45], off offset:1056
	;; [unrolled: 1-line block ×4, first 2 shown]
	v_add_co_u32 v44, s1, 0x2800, v79
	v_add_co_ci_u32_e64 v45, s1, 0, v80, s1
	v_add_co_u32 v46, s1, 0x3000, v79
	v_add_co_ci_u32_e64 v47, s1, 0, v80, s1
	s_clause 0x3
	global_load_dwordx2 v[122:123], v[44:45], off offset:848
	global_load_dwordx2 v[124:125], v[44:45], off offset:1376
	;; [unrolled: 1-line block ×4, first 2 shown]
	v_add_co_u32 v44, s1, 0x3800, v79
	v_add_co_ci_u32_e64 v45, s1, 0, v80, s1
	s_clause 0x4
	global_load_dwordx2 v[130:131], v[46:47], off offset:912
	global_load_dwordx2 v[132:133], v[46:47], off offset:1440
	;; [unrolled: 1-line block ×5, first 2 shown]
	v_add_co_u32 v46, s1, 0x4000, v79
	v_add_co_ci_u32_e64 v47, s1, 0, v80, s1
	s_clause 0x3
	global_load_dwordx2 v[140:141], v[44:45], off offset:1504
	global_load_dwordx2 v[142:143], v[44:45], off offset:2032
	;; [unrolled: 1-line block ×4, first 2 shown]
	ds_read2_b64 v[44:47], v96 offset1:66
	v_add_nc_u32_e32 v153, 0x1000, v96
	ds_read2_b64 v[79:82], v96 offset0:132 offset1:198
	ds_read2_b64 v[83:86], v152 offset0:8 offset1:74
	;; [unrolled: 1-line block ×3, first 2 shown]
	v_add_nc_u32_e32 v154, 0x1800, v96
	ds_read_b64 v[148:149], v96 offset:8448
	ds_read2_b64 v[98:101], v153 offset0:16 offset1:82
	ds_read2_b64 v[102:105], v153 offset0:148 offset1:214
	;; [unrolled: 1-line block ×4, first 2 shown]
	s_waitcnt vmcnt(16) lgkmcnt(8)
	v_mul_f32_e32 v155, v47, v115
	s_waitcnt vmcnt(15) lgkmcnt(7)
	v_mul_f32_e32 v156, v80, v117
	s_waitcnt vmcnt(14)
	v_mul_f32_e32 v150, v45, v119
	v_mul_f32_e32 v151, v44, v119
	;; [unrolled: 1-line block ×4, first 2 shown]
	s_waitcnt vmcnt(13)
	v_mul_f32_e32 v157, v82, v121
	v_mul_f32_e32 v117, v81, v121
	v_fma_f32 v150, v44, v118, -v150
	s_waitcnt vmcnt(12) lgkmcnt(6)
	v_mul_f32_e32 v158, v84, v123
	v_mul_f32_e32 v121, v83, v123
	s_waitcnt vmcnt(11)
	v_mul_f32_e32 v159, v86, v125
	v_mul_f32_e32 v123, v85, v125
	s_waitcnt vmcnt(10) lgkmcnt(5)
	v_mul_f32_e32 v160, v88, v127
	v_mul_f32_e32 v125, v87, v127
	s_waitcnt vmcnt(9)
	v_mul_f32_e32 v161, v90, v129
	v_mul_f32_e32 v127, v89, v129
	;; [unrolled: 6-line block ×6, first 2 shown]
	s_waitcnt vmcnt(0)
	v_mul_f32_e32 v170, v149, v147
	v_mul_f32_e32 v145, v148, v147
	v_fmac_f32_e32 v151, v45, v118
	v_fma_f32 v118, v46, v114, -v155
	v_fmac_f32_e32 v119, v47, v114
	v_fma_f32 v114, v79, v116, -v156
	;; [unrolled: 2-line block ×16, first 2 shown]
	v_fmac_f32_e32 v145, v149, v146
	ds_write2_b64 v96, v[150:151], v[118:119] offset1:66
	ds_write2_b64 v96, v[114:115], v[116:117] offset0:132 offset1:198
	ds_write2_b64 v152, v[120:121], v[122:123] offset0:8 offset1:74
	;; [unrolled: 1-line block ×7, first 2 shown]
	ds_write_b64 v96, v[144:145] offset:8448
.LBB0_13:
	s_or_b32 exec_lo, exec_lo, s2
	s_waitcnt lgkmcnt(0)
	s_barrier
	buffer_gl0_inv
	s_and_saveexec_b32 s1, vcc_lo
	s_cbranch_execz .LBB0_15
; %bb.14:
	v_add_nc_u32_e32 v0, 0x800, v96
	v_add_nc_u32_e32 v1, 0x1000, v96
	;; [unrolled: 1-line block ×3, first 2 shown]
	ds_read2_b64 v[48:51], v96 offset1:66
	ds_read2_b64 v[52:55], v96 offset0:132 offset1:198
	ds_read2_b64 v[68:71], v0 offset0:8 offset1:74
	;; [unrolled: 1-line block ×7, first 2 shown]
	ds_read_b64 v[73:74], v96 offset:8448
.LBB0_15:
	s_or_b32 exec_lo, exec_lo, s1
	s_waitcnt lgkmcnt(0)
	v_sub_f32_e32 v89, v51, v74
	v_add_f32_e32 v90, v74, v51
	v_add_f32_e32 v98, v73, v50
	v_sub_f32_e32 v103, v50, v73
	v_sub_f32_e32 v115, v53, v3
	v_mul_f32_e32 v79, 0xbf4c4adb, v89
	v_mul_f32_e32 v80, 0xbf1a4643, v90
	v_add_f32_e32 v136, v3, v53
	v_add_f32_e32 v99, v2, v52
	v_sub_f32_e32 v100, v52, v2
	v_fma_f32 v44, 0xbf1a4643, v98, -v79
	v_fmamk_f32 v45, v103, 0xbf4c4adb, v80
	v_mul_f32_e32 v82, 0x3f763a35, v115
	v_mul_f32_e32 v86, 0xbe8c1d8e, v136
	v_sub_f32_e32 v114, v55, v1
	v_add_f32_e32 v137, v1, v55
	v_add_f32_e32 v44, v48, v44
	v_add_f32_e32 v45, v49, v45
	v_fma_f32 v46, 0xbe8c1d8e, v99, -v82
	v_fmamk_f32 v47, v100, 0x3f763a35, v86
	v_add_f32_e32 v101, v0, v54
	v_mul_f32_e32 v81, 0xbeb8f4ab, v114
	v_sub_f32_e32 v102, v54, v0
	v_mul_f32_e32 v149, 0x3f6eb680, v137
	v_sub_f32_e32 v116, v69, v7
	v_add_f32_e32 v146, v7, v69
	v_add_f32_e32 v44, v46, v44
	v_add_f32_e32 v45, v47, v45
	v_fma_f32 v46, 0x3f6eb680, v101, -v81
	v_fmamk_f32 v47, v102, 0xbeb8f4ab, v149
	v_add_f32_e32 v104, v6, v68
	v_sub_f32_e32 v105, v68, v6
	v_mul_f32_e32 v83, 0xbf06c442, v116
	v_mul_f32_e32 v155, 0xbf59a7d5, v146
	v_sub_f32_e32 v117, v71, v5
	v_add_f32_e32 v150, v5, v71
	v_add_f32_e32 v44, v46, v44
	v_add_f32_e32 v45, v47, v45
	v_fma_f32 v46, 0xbf59a7d5, v104, -v83
	v_fmamk_f32 v47, v105, 0xbf06c442, v155
	v_add_f32_e32 v106, v4, v70
	v_mul_f32_e32 v84, 0x3f7ee86f, v117
	v_sub_f32_e32 v107, v70, v4
	v_mul_f32_e32 v162, 0x3dbcf732, v150
	v_sub_f32_e32 v118, v65, v59
	v_add_f32_e32 v159, v59, v65
	v_add_f32_e32 v44, v46, v44
	v_add_f32_e32 v45, v47, v45
	v_fma_f32 v46, 0x3dbcf732, v106, -v84
	v_fmamk_f32 v47, v107, 0x3f7ee86f, v162
	v_add_f32_e32 v108, v58, v64
	v_sub_f32_e32 v109, v64, v58
	;; [unrolled: 20-line block ×3, first 2 shown]
	v_mul_f32_e32 v87, 0x3f65296c, v120
	v_mul_f32_e32 v163, 0x3ee437d1, v131
	v_add_f32_e32 v44, v46, v44
	v_add_f32_e32 v45, v47, v45
	v_fma_f32 v46, 0x3ee437d1, v112, -v87
	v_fmamk_f32 v47, v113, 0x3f65296c, v163
	s_barrier
	buffer_gl0_inv
	v_add_f32_e32 v46, v46, v44
	v_add_f32_e32 v47, v47, v45
	s_and_saveexec_b32 s1, vcc_lo
	s_cbranch_execz .LBB0_17
; %bb.16:
	v_mul_f32_e32 v135, 0xbf7ba420, v90
	v_mul_f32_e32 v121, 0x3f6eb680, v136
	;; [unrolled: 1-line block ×5, first 2 shown]
	v_fmamk_f32 v44, v103, 0x3e3c28d5, v135
	v_fmamk_f32 v45, v100, 0xbeb8f4ab, v121
	;; [unrolled: 1-line block ×3, first 2 shown]
	v_mul_f32_e32 v141, 0xbe3c28d5, v89
	v_mul_f32_e32 v132, 0x3ee437d1, v159
	v_add_f32_e32 v44, v49, v44
	v_mul_f32_e32 v142, 0x3eb8f4ab, v115
	v_mul_f32_e32 v128, 0xbe8c1d8e, v134
	;; [unrolled: 1-line block ×4, first 2 shown]
	v_add_f32_e32 v44, v45, v44
	v_fmamk_f32 v45, v105, 0xbf2c7751, v126
	v_fmamk_f32 v124, v99, 0x3f6eb680, v142
	v_mul_f32_e32 v138, 0xbf59a7d5, v90
	v_mul_f32_e32 v157, 0xbf4c4adb, v117
	v_add_f32_e32 v44, v123, v44
	v_fmamk_f32 v123, v98, 0xbf7ba420, v141
	v_mul_f32_e32 v133, 0x3ee437d1, v136
	v_mul_f32_e32 v158, 0x3f65296c, v118
	v_fmamk_f32 v125, v106, 0xbf1a4643, v157
	v_add_f32_e32 v44, v45, v44
	v_fmamk_f32 v45, v107, 0x3f4c4adb, v127
	v_add_f32_e32 v123, v48, v123
	v_mul_f32_e32 v139, 0x3dbcf732, v131
	v_fmamk_f32 v129, v100, 0xbf65296c, v133
	v_mul_f32_e32 v148, 0xbf763a35, v119
	v_add_f32_e32 v44, v45, v44
	v_fmamk_f32 v45, v109, 0xbf65296c, v132
	v_add_f32_e32 v123, v124, v123
	v_fmamk_f32 v124, v101, 0xbf59a7d5, v143
	v_fmamk_f32 v144, v113, 0xbf7ee86f, v139
	;; [unrolled: 1-line block ×3, first 2 shown]
	v_add_f32_e32 v44, v45, v44
	v_fmamk_f32 v45, v111, 0x3f763a35, v128
	v_mul_f32_e32 v153, 0x3f65296c, v115
	v_mul_f32_e32 v156, 0x3f7ee86f, v120
	;; [unrolled: 1-line block ×4, first 2 shown]
	v_add_f32_e32 v44, v45, v44
	v_add_f32_e32 v45, v124, v123
	v_fmamk_f32 v123, v104, 0x3f3d2fb0, v147
	v_fmamk_f32 v124, v103, 0x3f06c442, v138
	;; [unrolled: 1-line block ×4, first 2 shown]
	v_sub_f32_e32 v80, v80, v140
	v_add_f32_e32 v45, v123, v45
	v_add_f32_e32 v124, v49, v124
	v_mul_f32_e32 v123, 0x3dbcf732, v137
	v_mul_f32_e32 v167, 0xbeb8f4ab, v102
	;; [unrolled: 1-line block ×3, first 2 shown]
	v_add_f32_e32 v45, v125, v45
	v_fmamk_f32 v125, v108, 0x3ee437d1, v158
	v_add_f32_e32 v129, v129, v124
	v_fmamk_f32 v130, v102, 0x3f7ee86f, v123
	v_mul_f32_e32 v124, 0xbf1a4643, v146
	v_add_f32_e32 v80, v49, v80
	v_add_f32_e32 v145, v125, v45
	v_mul_f32_e32 v125, 0x3f6eb680, v150
	v_add_f32_e32 v129, v130, v129
	v_fmamk_f32 v130, v105, 0xbf4c4adb, v124
	v_add_f32_e32 v45, v144, v44
	v_add_f32_e32 v44, v151, v145
	v_mul_f32_e32 v151, 0xbf06c442, v89
	v_fmamk_f32 v144, v107, 0x3eb8f4ab, v125
	v_add_f32_e32 v130, v130, v129
	v_mul_f32_e32 v129, 0xbf7ba420, v159
	v_add_f32_e32 v44, v179, v44
	v_fmamk_f32 v145, v98, 0xbf59a7d5, v151
	v_sub_f32_e32 v86, v86, v152
	v_add_f32_e32 v154, v144, v130
	v_fmamk_f32 v177, v109, 0x3e3c28d5, v129
	v_mul_f32_e32 v130, 0x3f3d2fb0, v134
	v_add_f32_e32 v145, v48, v145
	v_mul_f32_e32 v144, 0xbf7ee86f, v114
	v_mul_f32_e32 v152, 0xbe3c28d5, v118
	v_add_f32_e32 v154, v177, v154
	v_fmamk_f32 v177, v111, 0xbf2c7751, v130
	v_add_f32_e32 v178, v178, v145
	v_fmamk_f32 v180, v101, 0x3dbcf732, v144
	v_mul_f32_e32 v145, 0x3f4c4adb, v116
	v_mul_f32_e32 v164, 0xbf1a4643, v98
	v_add_f32_e32 v177, v177, v154
	v_mul_f32_e32 v154, 0xbeb8f4ab, v117
	v_add_f32_e32 v178, v180, v178
	v_fmamk_f32 v179, v104, 0xbf1a4643, v145
	v_mul_f32_e32 v169, 0xbf06c442, v105
	v_fmamk_f32 v180, v113, 0x3f763a35, v140
	v_add_f32_e32 v86, v86, v80
	v_sub_f32_e32 v167, v149, v167
	v_add_f32_e32 v178, v179, v178
	v_fmamk_f32 v179, v106, 0x3f6eb680, v154
	v_mul_f32_e32 v149, 0x3f2c7751, v119
	v_mul_f32_e32 v165, 0xbe8c1d8e, v99
	;; [unrolled: 1-line block ×3, first 2 shown]
	v_add_f32_e32 v80, v180, v177
	v_add_f32_e32 v178, v179, v178
	v_fmamk_f32 v179, v108, 0xbf7ba420, v152
	v_add_f32_e32 v86, v167, v86
	v_sub_f32_e32 v167, v155, v169
	v_fmamk_f32 v177, v110, 0x3f3d2fb0, v149
	v_add_f32_e32 v79, v164, v79
	v_add_f32_e32 v169, v179, v178
	v_mul_f32_e32 v166, 0x3f6eb680, v101
	v_mul_f32_e32 v173, 0xbf2c7751, v109
	v_add_f32_e32 v86, v167, v86
	v_sub_f32_e32 v162, v162, v171
	v_add_f32_e32 v164, v177, v169
	v_add_f32_e32 v79, v48, v79
	;; [unrolled: 1-line block ×3, first 2 shown]
	v_mul_f32_e32 v177, 0xbe8c1d8e, v90
	v_mul_f32_e32 v168, 0xbf59a7d5, v104
	v_add_f32_e32 v86, v162, v86
	v_sub_f32_e32 v160, v160, v173
	v_add_f32_e32 v82, v82, v79
	v_add_f32_e32 v81, v166, v81
	v_fmamk_f32 v162, v103, 0x3f763a35, v177
	v_mul_f32_e32 v178, 0xbf59a7d5, v136
	v_mul_f32_e32 v170, 0x3dbcf732, v106
	v_add_f32_e32 v86, v160, v86
	v_add_f32_e32 v81, v81, v82
	;; [unrolled: 1-line block ×4, first 2 shown]
	v_fmamk_f32 v160, v100, 0xbf06c442, v178
	v_mul_f32_e32 v179, 0x3f3d2fb0, v137
	v_mul_f32_e32 v172, 0x3f3d2fb0, v108
	;; [unrolled: 1-line block ×3, first 2 shown]
	v_add_f32_e32 v81, v82, v81
	v_add_f32_e32 v82, v170, v84
	;; [unrolled: 1-line block ×3, first 2 shown]
	v_fmamk_f32 v84, v102, 0xbf2c7751, v179
	v_mul_f32_e32 v180, 0x3ee437d1, v146
	v_mul_f32_e32 v174, 0xbf7ba420, v110
	;; [unrolled: 1-line block ×3, first 2 shown]
	v_sub_f32_e32 v161, v161, v175
	v_add_f32_e32 v81, v82, v81
	v_add_f32_e32 v82, v172, v85
	;; [unrolled: 1-line block ×3, first 2 shown]
	v_fmamk_f32 v84, v105, 0x3f65296c, v180
	v_mul_f32_e32 v181, 0xbf7ba420, v150
	v_mul_f32_e32 v176, 0x3ee437d1, v112
	v_add_f32_e32 v86, v161, v86
	v_sub_f32_e32 v85, v163, v182
	v_add_f32_e32 v81, v82, v81
	v_add_f32_e32 v88, v174, v88
	v_add_f32_e32 v83, v84, v83
	v_fmamk_f32 v84, v107, 0x3e3c28d5, v181
	v_mul_f32_e32 v163, 0x3dbcf732, v159
	v_mul_f32_e32 v185, 0xbf763a35, v89
	v_add_f32_e32 v82, v85, v86
	v_add_f32_e32 v81, v88, v81
	;; [unrolled: 1-line block ×3, first 2 shown]
	v_fmamk_f32 v84, v109, 0xbf7ee86f, v163
	v_mul_f32_e32 v160, 0x3f6eb680, v134
	v_add_f32_e32 v85, v176, v87
	v_fmamk_f32 v86, v98, 0xbe8c1d8e, v185
	v_mul_f32_e32 v187, 0x3f06c442, v115
	v_add_f32_e32 v83, v84, v83
	v_fmamk_f32 v84, v111, 0x3eb8f4ab, v160
	v_add_f32_e32 v81, v85, v81
	v_add_f32_e32 v85, v48, v86
	v_fmamk_f32 v86, v99, 0xbf59a7d5, v187
	v_mul_f32_e32 v166, 0x3f2c7751, v114
	v_mul_f32_e32 v191, 0x3dbcf732, v90
	;; [unrolled: 1-line block ×3, first 2 shown]
	v_add_f32_e32 v83, v84, v83
	v_add_f32_e32 v84, v86, v85
	v_fmamk_f32 v85, v101, 0x3f3d2fb0, v166
	v_mul_f32_e32 v161, 0xbf65296c, v116
	v_fmamk_f32 v87, v103, 0x3f7ee86f, v191
	v_mul_f32_e32 v168, 0xbf7ba420, v136
	v_fmamk_f32 v165, v112, 0xbe8c1d8e, v155
	v_add_f32_e32 v84, v85, v84
	v_fmamk_f32 v85, v104, 0x3ee437d1, v161
	v_mul_f32_e32 v162, 0xbe3c28d5, v117
	v_add_f32_e32 v87, v49, v87
	v_fmamk_f32 v88, v100, 0x3e3c28d5, v168
	v_mul_f32_e32 v169, 0xbe8c1d8e, v137
	v_add_f32_e32 v79, v165, v164
	v_mul_f32_e32 v164, 0xbf1a4643, v131
	v_add_f32_e32 v84, v85, v84
	v_fmamk_f32 v85, v106, 0xbf7ba420, v162
	v_mul_f32_e32 v165, 0x3f7ee86f, v118
	v_add_f32_e32 v87, v88, v87
	v_fmamk_f32 v88, v102, 0xbf763a35, v169
	v_mul_f32_e32 v174, 0x3f6eb680, v146
	v_fmamk_f32 v86, v113, 0x3f4c4adb, v164
	v_add_f32_e32 v84, v85, v84
	v_fmamk_f32 v85, v108, 0x3dbcf732, v165
	v_mul_f32_e32 v167, 0xbeb8f4ab, v119
	v_add_f32_e32 v87, v88, v87
	v_fmamk_f32 v88, v105, 0xbeb8f4ab, v174
	v_mul_f32_e32 v175, 0x3ee437d1, v150
	v_add_f32_e32 v85, v85, v84
	v_fmamk_f32 v170, v110, 0x3f6eb680, v167
	v_add_f32_e32 v84, v86, v83
	v_add_f32_e32 v83, v88, v87
	v_fmamk_f32 v86, v107, 0x3f65296c, v175
	v_mul_f32_e32 v176, 0xbf59a7d5, v159
	v_mul_f32_e32 v183, 0xbf4c4adb, v120
	;; [unrolled: 1-line block ×3, first 2 shown]
	v_add_f32_e32 v85, v170, v85
	v_add_f32_e32 v83, v86, v83
	v_fmamk_f32 v86, v109, 0x3f06c442, v176
	v_mul_f32_e32 v182, 0xbf1a4643, v134
	v_fmamk_f32 v87, v112, 0xbf1a4643, v183
	v_fmamk_f32 v88, v98, 0x3dbcf732, v194
	v_mul_f32_e32 v195, 0xbe3c28d5, v115
	v_add_f32_e32 v86, v86, v83
	v_fmamk_f32 v170, v111, 0xbf4c4adb, v182
	v_add_f32_e32 v83, v87, v85
	v_add_f32_e32 v85, v48, v88
	v_fmamk_f32 v87, v99, 0xbf7ba420, v195
	v_mul_f32_e32 v196, 0x3f763a35, v114
	v_mul_f32_e32 v192, 0x3ee437d1, v90
	v_add_f32_e32 v86, v170, v86
	v_mul_f32_e32 v214, 0x3eb8f4ab, v116
	v_add_f32_e32 v85, v87, v85
	v_fmamk_f32 v87, v101, 0xbe8c1d8e, v196
	v_fmamk_f32 v170, v103, 0x3f65296c, v192
	v_mul_f32_e32 v188, 0xbf1a4643, v136
	v_mul_f32_e32 v215, 0xbf65296c, v117
	v_mul_f32_e32 v186, 0x3f3d2fb0, v131
	v_add_f32_e32 v85, v87, v85
	v_fmamk_f32 v87, v104, 0x3f6eb680, v214
	v_add_f32_e32 v171, v49, v170
	v_fmamk_f32 v172, v100, 0x3f4c4adb, v188
	v_mul_f32_e32 v170, 0xbf7ba420, v137
	v_mul_f32_e32 v216, 0xbf06c442, v118
	v_add_f32_e32 v85, v87, v85
	v_fmamk_f32 v87, v106, 0x3ee437d1, v215
	v_add_f32_e32 v172, v172, v171
	v_fmamk_f32 v173, v102, 0xbe3c28d5, v170
	v_mul_f32_e32 v171, 0xbe8c1d8e, v146
	v_fmamk_f32 v88, v113, 0xbf2c7751, v186
	v_add_f32_e32 v85, v87, v85
	v_fmamk_f32 v87, v108, 0xbf59a7d5, v216
	v_mul_f32_e32 v209, 0x3f4c4adb, v119
	v_add_f32_e32 v173, v173, v172
	v_fmamk_f32 v184, v105, 0xbf763a35, v171
	v_mul_f32_e32 v172, 0x3f3d2fb0, v150
	v_add_f32_e32 v85, v87, v85
	v_fmamk_f32 v87, v110, 0xbf1a4643, v209
	v_add_f32_e32 v86, v88, v86
	v_add_f32_e32 v88, v184, v173
	v_fmamk_f32 v184, v107, 0xbf2c7751, v172
	v_mul_f32_e32 v173, 0x3f6eb680, v159
	v_mul_f32_e32 v204, 0xbf65296c, v89
	v_add_f32_e32 v85, v87, v85
	v_mul_f32_e32 v207, 0xbf4c4adb, v115
	v_add_f32_e32 v87, v184, v88
	v_fmamk_f32 v88, v109, 0x3eb8f4ab, v173
	v_mul_f32_e32 v184, 0x3dbcf732, v134
	v_fmamk_f32 v190, v98, 0x3ee437d1, v204
	v_fmamk_f32 v193, v99, 0xbf1a4643, v207
	v_mul_f32_e32 v197, 0x3e3c28d5, v114
	v_add_f32_e32 v87, v88, v87
	v_fmamk_f32 v88, v111, 0x3f7ee86f, v184
	v_add_f32_e32 v190, v48, v190
	v_mul_f32_e32 v217, 0x3f3d2fb0, v90
	v_mul_f32_e32 v198, 0x3f2c7751, v120
	;; [unrolled: 1-line block ×3, first 2 shown]
	v_add_f32_e32 v87, v88, v87
	v_add_f32_e32 v88, v193, v190
	v_fmamk_f32 v190, v101, 0xbf7ba420, v197
	v_fmamk_f32 v199, v103, 0x3f2c7751, v217
	v_mul_f32_e32 v218, 0x3dbcf732, v136
	v_fmamk_f32 v189, v112, 0x3f3d2fb0, v198
	v_mul_f32_e32 v211, 0x3f2c7751, v117
	v_add_f32_e32 v88, v190, v88
	v_fmamk_f32 v190, v104, 0xbe8c1d8e, v210
	v_add_f32_e32 v199, v49, v199
	v_fmamk_f32 v200, v100, 0x3f7ee86f, v218
	v_mul_f32_e32 v219, 0xbf1a4643, v137
	v_add_f32_e32 v85, v189, v85
	v_mul_f32_e32 v189, 0xbf59a7d5, v131
	v_add_f32_e32 v88, v190, v88
	v_fmamk_f32 v190, v106, 0x3f3d2fb0, v211
	v_mul_f32_e32 v212, 0xbeb8f4ab, v118
	v_add_f32_e32 v199, v200, v199
	v_fmamk_f32 v200, v102, 0x3f4c4adb, v219
	v_mul_f32_e32 v220, 0xbf7ba420, v146
	v_fmamk_f32 v193, v113, 0x3f06c442, v189
	v_add_f32_e32 v88, v190, v88
	v_fmamk_f32 v190, v108, 0x3f6eb680, v212
	v_add_f32_e32 v199, v200, v199
	v_fmamk_f32 v200, v105, 0x3e3c28d5, v220
	v_mul_f32_e32 v221, 0xbf59a7d5, v150
	v_mul_f32_e32 v205, 0xbe8c1d8e, v159
	v_add_f32_e32 v190, v190, v88
	v_add_f32_e32 v88, v193, v87
	;; [unrolled: 1-line block ×3, first 2 shown]
	v_fmamk_f32 v193, v107, 0xbf06c442, v221
	v_mul_f32_e32 v223, 0xbf2c7751, v89
	v_mul_f32_e32 v199, 0x3ee437d1, v134
	;; [unrolled: 1-line block ×4, first 2 shown]
	v_add_f32_e32 v87, v193, v87
	v_fmamk_f32 v193, v109, 0xbf763a35, v205
	v_fmamk_f32 v200, v98, 0x3f3d2fb0, v223
	;; [unrolled: 1-line block ×4, first 2 shown]
	v_mul_f32_e32 v222, 0xbf06c442, v120
	v_add_f32_e32 v202, v193, v87
	v_add_f32_e32 v200, v48, v200
	v_fmamk_f32 v206, v99, 0x3dbcf732, v224
	v_add_f32_e32 v190, v201, v190
	v_fmamk_f32 v201, v112, 0xbf59a7d5, v222
	v_add_f32_e32 v225, v203, v202
	v_mul_f32_e32 v202, 0x3f6eb680, v90
	v_mul_f32_e32 v193, 0xbf4c4adb, v114
	v_add_f32_e32 v90, v206, v200
	v_mul_f32_e32 v203, 0x3f3d2fb0, v136
	v_add_f32_e32 v87, v201, v190
	v_fmamk_f32 v206, v103, 0x3eb8f4ab, v202
	v_fmamk_f32 v201, v101, 0xbf1a4643, v193
	v_mul_f32_e32 v200, 0xbe3c28d5, v116
	v_fmamk_f32 v226, v100, 0x3f2c7751, v203
	v_mul_f32_e32 v150, 0xbe8c1d8e, v150
	v_add_f32_e32 v208, v49, v206
	v_mul_f32_e32 v206, 0x3ee437d1, v137
	v_add_f32_e32 v90, v201, v90
	v_fmamk_f32 v136, v104, 0xbf7ba420, v200
	v_mul_f32_e32 v201, 0x3f06c442, v117
	v_add_f32_e32 v226, v226, v208
	v_fmamk_f32 v227, v102, 0x3f65296c, v206
	;; [unrolled: 3-line block ×6, first 2 shown]
	v_mul_f32_e32 v159, 0xbf1a4643, v159
	v_add_f32_e32 v51, v51, v49
	v_add_f32_e32 v90, v136, v90
	v_fmamk_f32 v228, v110, 0x3ee437d1, v146
	v_fmamk_f32 v229, v113, 0xbeb8f4ab, v190
	v_add_f32_e32 v226, v227, v226
	v_fmamk_f32 v227, v109, 0x3f4c4adb, v159
	v_mul_f32_e32 v231, 0xbeb8f4ab, v89
	v_add_f32_e32 v51, v53, v51
	v_add_f32_e32 v50, v50, v48
	;; [unrolled: 1-line block ×5, first 2 shown]
	v_fmamk_f32 v226, v98, 0x3f6eb680, v231
	v_mul_f32_e32 v115, 0xbf2c7751, v115
	v_add_f32_e32 v51, v55, v51
	v_add_f32_e32 v50, v52, v50
	v_mul_f32_e32 v114, 0xbf65296c, v114
	v_add_f32_e32 v53, v48, v226
	v_fmamk_f32 v226, v99, 0x3f3d2fb0, v115
	v_add_f32_e32 v51, v69, v51
	v_add_f32_e32 v50, v54, v50
	v_fmamk_f32 v54, v101, 0x3ee437d1, v114
	v_mul_f32_e32 v69, 0xbf7ee86f, v116
	v_add_f32_e32 v53, v226, v53
	v_add_f32_e32 v51, v71, v51
	;; [unrolled: 1-line block ×3, first 2 shown]
	v_mul_f32_e32 v134, 0xbf59a7d5, v134
	v_mul_f32_e32 v68, 0xbf763a35, v117
	v_add_f32_e32 v53, v54, v53
	v_fmamk_f32 v54, v104, 0x3dbcf732, v69
	v_add_f32_e32 v51, v65, v51
	v_add_f32_e32 v50, v70, v50
	v_fmamk_f32 v52, v111, 0x3f06c442, v134
	v_mul_f32_e32 v65, 0xbf7ba420, v131
	v_add_f32_e32 v53, v54, v53
	v_fmamk_f32 v54, v106, 0xbe8c1d8e, v68
	v_add_f32_e32 v51, v67, v51
	v_add_f32_e32 v50, v64, v50
	v_mul_f32_e32 v64, 0xbf4c4adb, v118
	v_add_f32_e32 v52, v52, v225
	v_fmamk_f32 v55, v113, 0x3e3c28d5, v65
	v_add_f32_e32 v53, v54, v53
	v_add_f32_e32 v54, v61, v51
	v_add_f32_e32 v50, v66, v50
	v_fmamk_f32 v61, v108, 0xbf1a4643, v64
	v_mul_f32_e32 v66, 0xbf06c442, v119
	v_add_f32_e32 v51, v55, v52
	v_add_f32_e32 v52, v63, v54
	;; [unrolled: 1-line block ×4, first 2 shown]
	v_fmamk_f32 v54, v110, 0xbf59a7d5, v66
	v_mul_f32_e32 v60, 0xbe3c28d5, v120
	v_add_f32_e32 v52, v57, v52
	v_add_f32_e32 v50, v62, v50
	v_fmac_f32_e32 v135, 0xbe3c28d5, v103
	v_add_f32_e32 v53, v54, v53
	v_fmamk_f32 v54, v112, 0xbf7ba420, v60
	v_add_f32_e32 v52, v59, v52
	v_add_f32_e32 v55, v56, v50
	v_add_f32_e32 v56, v49, v135
	v_fmac_f32_e32 v121, 0x3eb8f4ab, v100
	v_add_f32_e32 v50, v54, v53
	v_fma_f32 v53, 0xbf7ba420, v98, -v141
	v_add_f32_e32 v5, v5, v52
	v_add_f32_e32 v52, v58, v55
	v_add_f32_e32 v54, v121, v56
	v_fmac_f32_e32 v122, 0xbf06c442, v102
	v_add_f32_e32 v53, v48, v53
	v_fma_f32 v55, 0x3f6eb680, v99, -v142
	;; [unrolled: 6-line block ×5, first 2 shown]
	v_add_f32_e32 v0, v2, v0
	v_fmac_f32_e32 v128, 0xbf763a35, v111
	v_add_f32_e32 v2, v132, v3
	v_fmac_f32_e32 v138, 0xbf06c442, v103
	v_add_f32_e32 v3, v5, v4
	v_fma_f32 v4, 0x3ee437d1, v108, -v158
	v_fmac_f32_e32 v139, 0x3f7ee86f, v113
	v_add_f32_e32 v2, v128, v2
	v_fma_f32 v5, 0xbe8c1d8e, v110, -v148
	v_add_f32_e32 v6, v49, v138
	v_add_f32_e32 v4, v4, v3
	v_fmac_f32_e32 v133, 0x3f65296c, v100
	v_add_f32_e32 v3, v139, v2
	v_fma_f32 v2, 0xbf59a7d5, v98, -v151
	v_fmac_f32_e32 v123, 0xbf7ee86f, v102
	v_add_f32_e32 v4, v5, v4
	v_fma_f32 v5, 0x3dbcf732, v112, -v156
	v_add_f32_e32 v6, v133, v6
	v_add_f32_e32 v7, v48, v2
	v_fma_f32 v52, 0x3ee437d1, v99, -v153
	v_fmac_f32_e32 v177, 0xbf763a35, v103
	v_add_f32_e32 v2, v5, v4
	v_add_f32_e32 v4, v123, v6
	v_fmac_f32_e32 v124, 0x3f4c4adb, v105
	v_add_f32_e32 v5, v52, v7
	v_fma_f32 v6, 0x3dbcf732, v101, -v144
	v_add_f32_e32 v7, v49, v177
	v_fmac_f32_e32 v178, 0x3f06c442, v100
	v_add_f32_e32 v4, v124, v4
	v_fmac_f32_e32 v125, 0xbeb8f4ab, v107
	v_add_f32_e32 v5, v6, v5
	v_fma_f32 v6, 0xbf1a4643, v104, -v145
	v_add_f32_e32 v7, v178, v7
	v_fmac_f32_e32 v179, 0x3f2c7751, v102
	;; [unrolled: 6-line block ×5, first 2 shown]
	v_add_f32_e32 v5, v140, v4
	v_fma_f32 v4, 0xbe8c1d8e, v98, -v185
	v_add_f32_e32 v6, v52, v6
	v_fma_f32 v52, 0xbe8c1d8e, v112, -v155
	v_add_f32_e32 v7, v163, v7
	v_fmac_f32_e32 v160, 0xbeb8f4ab, v111
	v_add_f32_e32 v53, v48, v4
	v_fma_f32 v54, 0xbf59a7d5, v99, -v187
	v_fmac_f32_e32 v191, 0xbf7ee86f, v103
	v_add_f32_e32 v4, v52, v6
	v_add_f32_e32 v6, v160, v7
	v_fmac_f32_e32 v164, 0xbf4c4adb, v113
	v_add_f32_e32 v52, v54, v53
	v_fma_f32 v53, 0x3f3d2fb0, v101, -v166
	v_add_f32_e32 v54, v49, v191
	v_fmac_f32_e32 v168, 0xbe3c28d5, v100
	v_add_f32_e32 v7, v164, v6
	v_fma_f32 v6, 0x3dbcf732, v98, -v194
	v_add_f32_e32 v52, v53, v52
	v_fma_f32 v53, 0x3ee437d1, v104, -v161
	v_add_f32_e32 v54, v168, v54
	v_fmac_f32_e32 v169, 0x3f763a35, v102
	v_add_f32_e32 v6, v48, v6
	v_fma_f32 v55, 0xbf7ba420, v99, -v195
	v_add_f32_e32 v52, v53, v52
	v_fma_f32 v53, 0xbf7ba420, v106, -v162
	v_add_f32_e32 v54, v169, v54
	v_fmac_f32_e32 v174, 0x3eb8f4ab, v105
	v_add_f32_e32 v6, v55, v6
	v_fma_f32 v55, 0xbe8c1d8e, v101, -v196
	v_add_f32_e32 v52, v53, v52
	v_fma_f32 v53, 0x3dbcf732, v108, -v165
	v_add_f32_e32 v54, v174, v54
	v_fmac_f32_e32 v175, 0xbf65296c, v107
	v_add_f32_e32 v6, v55, v6
	v_fma_f32 v55, 0x3f6eb680, v104, -v214
	v_add_f32_e32 v52, v53, v52
	v_fma_f32 v53, 0x3f6eb680, v110, -v167
	v_add_f32_e32 v54, v175, v54
	v_fmac_f32_e32 v176, 0xbf06c442, v109
	v_add_f32_e32 v6, v55, v6
	v_fma_f32 v55, 0x3ee437d1, v106, -v215
	v_add_f32_e32 v52, v53, v52
	v_fma_f32 v53, 0xbf1a4643, v112, -v183
	v_add_f32_e32 v54, v176, v54
	v_fmac_f32_e32 v182, 0x3f4c4adb, v111
	v_add_f32_e32 v55, v55, v6
	v_fma_f32 v56, 0xbf59a7d5, v108, -v216
	v_add_f32_e32 v6, v53, v52
	v_fmac_f32_e32 v192, 0xbf65296c, v103
	v_add_f32_e32 v52, v182, v54
	v_fmac_f32_e32 v186, 0x3f2c7751, v113
	v_add_f32_e32 v54, v56, v55
	v_fma_f32 v55, 0xbf1a4643, v110, -v209
	v_add_f32_e32 v56, v49, v192
	v_fmac_f32_e32 v188, 0xbf4c4adb, v100
	v_add_f32_e32 v53, v186, v52
	v_fma_f32 v52, 0x3ee437d1, v98, -v204
	v_add_f32_e32 v54, v55, v54
	v_fma_f32 v55, 0x3f3d2fb0, v112, -v198
	v_add_f32_e32 v56, v188, v56
	v_fmac_f32_e32 v170, 0x3e3c28d5, v102
	v_add_f32_e32 v57, v48, v52
	v_fma_f32 v58, 0xbf1a4643, v99, -v207
	v_fmac_f32_e32 v217, 0xbf2c7751, v103
	v_add_f32_e32 v52, v55, v54
	v_add_f32_e32 v54, v170, v56
	v_fmac_f32_e32 v171, 0x3f763a35, v105
	v_add_f32_e32 v55, v58, v57
	v_fma_f32 v56, 0xbf7ba420, v101, -v197
	v_add_f32_e32 v57, v49, v217
	v_fmac_f32_e32 v218, 0xbf7ee86f, v100
	v_add_f32_e32 v54, v171, v54
	v_fmac_f32_e32 v172, 0x3f2c7751, v107
	v_add_f32_e32 v55, v56, v55
	v_fma_f32 v56, 0xbe8c1d8e, v104, -v210
	v_add_f32_e32 v57, v218, v57
	v_fmac_f32_e32 v219, 0xbf4c4adb, v102
	;; [unrolled: 6-line block ×5, first 2 shown]
	v_add_f32_e32 v55, v189, v54
	v_fma_f32 v54, 0x3f3d2fb0, v98, -v223
	v_add_f32_e32 v56, v58, v56
	v_fma_f32 v58, 0xbf59a7d5, v112, -v222
	v_add_f32_e32 v57, v205, v57
	v_fmac_f32_e32 v199, 0x3f65296c, v111
	v_add_f32_e32 v59, v48, v54
	v_fmac_f32_e32 v202, 0xbeb8f4ab, v103
	v_add_f32_e32 v54, v58, v56
	v_fma_f32 v61, 0x3dbcf732, v99, -v224
	v_add_f32_e32 v56, v199, v57
	v_fma_f32 v57, 0x3f6eb680, v98, -v231
	v_add_f32_e32 v49, v49, v202
	v_fmac_f32_e32 v203, 0xbf2c7751, v100
	v_add_f32_e32 v58, v61, v59
	v_fma_f32 v59, 0xbf1a4643, v101, -v193
	v_add_f32_e32 v48, v48, v57
	v_fma_f32 v57, 0x3f3d2fb0, v99, -v115
	;; [unrolled: 6-line block ×5, first 2 shown]
	v_add_f32_e32 v49, v150, v49
	v_fmac_f32_e32 v159, 0xbf4c4adb, v109
	v_mul_f32_e32 v136, 0x3eb8f4ab, v120
	v_add_f32_e32 v58, v59, v58
	v_add_f32_e32 v48, v57, v48
	v_fma_f32 v57, 0xbf1a4643, v108, -v64
	v_fma_f32 v59, 0x3ee437d1, v110, -v146
	v_add_f32_e32 v49, v159, v49
	v_fmac_f32_e32 v134, 0xbf06c442, v111
	v_and_b32_e32 v61, 0xffff, v94
	v_add_f32_e32 v48, v57, v48
	v_fma_f32 v57, 0xbf59a7d5, v110, -v66
	v_fmamk_f32 v230, v112, 0x3f6eb680, v136
	v_add_f32_e32 v1, v74, v1
	v_add_f32_e32 v0, v73, v0
	v_fmac_f32_e32 v190, 0x3eb8f4ab, v113
	v_add_f32_e32 v58, v59, v58
	v_fma_f32 v59, 0x3f6eb680, v112, -v136
	v_add_f32_e32 v62, v134, v49
	v_fmac_f32_e32 v65, 0xbe3c28d5, v113
	v_add_f32_e32 v63, v57, v48
	v_fma_f32 v60, 0xbf7ba420, v112, -v60
	v_lshl_add_u32 v61, v61, 3, v93
	v_add_f32_e32 v89, v230, v228
	v_add_f32_e32 v49, v190, v56
	;; [unrolled: 1-line block ×5, first 2 shown]
	ds_write2_b64 v61, v[0:1], v[50:51] offset1:1
	ds_write2_b64 v61, v[89:90], v[87:88] offset0:2 offset1:3
	ds_write2_b64 v61, v[85:86], v[83:84] offset0:4 offset1:5
	;; [unrolled: 1-line block ×7, first 2 shown]
	ds_write_b64 v61, v[56:57] offset:128
.LBB0_17:
	s_or_b32 exec_lo, exec_lo, s1
	s_waitcnt lgkmcnt(0)
	s_barrier
	buffer_gl0_inv
	ds_read2_b64 v[0:3], v95 offset1:102
	v_add_nc_u32_e32 v4, 0x400, v95
	v_add_nc_u32_e32 v44, 0x800, v95
	ds_read2_b64 v[4:7], v4 offset0:76 offset1:178
	ds_read2_b64 v[48:51], v44 offset0:152 offset1:254
	v_add_nc_u32_e32 v44, 0x1000, v95
	v_add_nc_u32_e32 v56, 0x1800, v95
	ds_read2_b64 v[52:55], v44 offset0:100 offset1:202
	ds_read_b64 v[44:45], v95 offset:8160
	ds_read2_b64 v[56:59], v56 offset0:48 offset1:150
	s_waitcnt lgkmcnt(0)
	s_barrier
	buffer_gl0_inv
	v_mul_f32_e32 v60, v25, v3
	v_mul_f32_e32 v25, v25, v2
	v_fmac_f32_e32 v60, v24, v2
	v_fma_f32 v2, v24, v3, -v25
	v_mul_f32_e32 v3, v27, v5
	v_mul_f32_e32 v24, v27, v4
	;; [unrolled: 1-line block ×6, first 2 shown]
	v_fmac_f32_e32 v3, v26, v4
	v_fma_f32 v4, v26, v5, -v24
	v_fmac_f32_e32 v25, v20, v6
	v_fma_f32 v5, v20, v7, -v21
	v_add_f32_e32 v20, v0, v60
	v_add_f32_e32 v21, v1, v2
	v_mul_f32_e32 v27, v23, v49
	v_mul_f32_e32 v23, v23, v48
	;; [unrolled: 1-line block ×3, first 2 shown]
	v_fmac_f32_e32 v61, v12, v50
	v_fma_f32 v12, v12, v51, -v13
	v_mul_f32_e32 v13, v15, v52
	v_add_f32_e32 v15, v20, v3
	v_add_f32_e32 v20, v21, v4
	v_fma_f32 v6, v22, v49, -v23
	v_fmac_f32_e32 v7, v14, v52
	v_mul_f32_e32 v21, v9, v55
	v_mul_f32_e32 v9, v9, v54
	v_fma_f32 v13, v14, v53, -v13
	v_add_f32_e32 v14, v15, v25
	v_add_f32_e32 v15, v20, v5
	v_fmac_f32_e32 v27, v22, v48
	v_fma_f32 v20, v8, v55, -v9
	v_fmac_f32_e32 v21, v8, v54
	v_mul_f32_e32 v22, v11, v57
	v_add_f32_e32 v9, v15, v6
	v_add_f32_e32 v8, v14, v27
	v_mul_f32_e32 v11, v11, v56
	v_mul_f32_e32 v14, v17, v59
	v_fmac_f32_e32 v22, v10, v56
	v_add_f32_e32 v9, v9, v12
	v_add_f32_e32 v8, v8, v61
	v_fma_f32 v10, v10, v57, -v11
	v_mul_f32_e32 v11, v19, v44
	v_mul_f32_e32 v17, v17, v58
	v_add_f32_e32 v9, v9, v13
	v_fmac_f32_e32 v14, v16, v58
	v_add_f32_e32 v8, v8, v7
	v_mul_f32_e32 v15, v19, v45
	v_fma_f32 v11, v18, v45, -v11
	v_add_f32_e32 v9, v9, v20
	v_fma_f32 v16, v16, v59, -v17
	v_add_f32_e32 v8, v8, v21
	v_fmac_f32_e32 v15, v18, v44
	v_sub_f32_e32 v17, v2, v11
	v_add_f32_e32 v9, v9, v10
	v_add_f32_e32 v2, v2, v11
	;; [unrolled: 1-line block ×4, first 2 shown]
	v_mul_f32_e32 v19, 0xbf0a6770, v17
	v_add_f32_e32 v9, v9, v16
	v_sub_f32_e32 v23, v60, v15
	v_mul_f32_e32 v24, 0x3f575c64, v2
	v_mul_f32_e32 v45, 0x3ed4b147, v2
	;; [unrolled: 1-line block ×3, first 2 shown]
	v_add_f32_e32 v9, v9, v11
	v_mul_f32_e32 v11, 0xbf68dda4, v17
	v_mul_f32_e32 v50, 0xbe11bafb, v2
	;; [unrolled: 1-line block ×6, first 2 shown]
	v_sub_f32_e32 v58, v4, v16
	v_add_f32_e32 v8, v8, v14
	v_fmamk_f32 v26, v18, 0x3f575c64, v19
	v_fma_f32 v19, 0x3f575c64, v18, -v19
	v_fmamk_f32 v44, v18, 0x3ed4b147, v11
	v_fma_f32 v11, 0x3ed4b147, v18, -v11
	;; [unrolled: 2-line block ×4, first 2 shown]
	v_fmamk_f32 v57, v18, 0xbf75a155, v17
	v_fmamk_f32 v59, v23, 0x3e903f40, v2
	v_fma_f32 v17, 0xbf75a155, v18, -v17
	v_add_f32_e32 v4, v4, v16
	v_add_f32_e32 v16, v3, v14
	v_mul_f32_e32 v18, 0xbf68dda4, v58
	v_add_f32_e32 v8, v8, v15
	v_fmamk_f32 v15, v23, 0x3f0a6770, v24
	v_add_f32_e32 v26, v0, v26
	v_fmac_f32_e32 v24, 0xbf0a6770, v23
	v_fmamk_f32 v49, v23, 0x3f68dda4, v45
	v_fmac_f32_e32 v45, 0xbf68dda4, v23
	v_fmamk_f32 v52, v23, 0x3f7d64f0, v50
	;; [unrolled: 2-line block ×3, first 2 shown]
	v_fmac_f32_e32 v54, 0xbf4178ce, v23
	v_fmac_f32_e32 v2, 0xbe903f40, v23
	v_sub_f32_e32 v3, v3, v14
	v_mul_f32_e32 v14, 0x3ed4b147, v4
	v_add_f32_e32 v23, v1, v59
	v_fmamk_f32 v59, v16, 0x3ed4b147, v18
	v_add_f32_e32 v15, v1, v15
	v_add_f32_e32 v19, v0, v19
	;; [unrolled: 1-line block ×18, first 2 shown]
	v_fmamk_f32 v2, v3, 0x3f68dda4, v14
	v_mul_f32_e32 v17, 0xbf4178ce, v58
	v_add_f32_e32 v26, v59, v26
	v_fma_f32 v18, 0x3ed4b147, v16, -v18
	v_fmac_f32_e32 v14, 0xbf68dda4, v3
	v_mul_f32_e32 v59, 0xbf27a4f4, v4
	v_add_f32_e32 v2, v2, v15
	v_fmamk_f32 v15, v16, 0xbf27a4f4, v17
	v_add_f32_e32 v18, v18, v19
	v_add_f32_e32 v14, v14, v24
	v_mul_f32_e32 v19, 0x3e903f40, v58
	v_fmamk_f32 v24, v3, 0x3f4178ce, v59
	v_fma_f32 v17, 0xbf27a4f4, v16, -v17
	v_fmac_f32_e32 v59, 0xbf4178ce, v3
	v_mul_f32_e32 v60, 0xbf75a155, v4
	v_add_f32_e32 v15, v15, v44
	v_fmamk_f32 v44, v16, 0xbf75a155, v19
	v_add_f32_e32 v24, v24, v49
	v_add_f32_e32 v11, v17, v11
	;; [unrolled: 1-line block ×3, first 2 shown]
	v_fmamk_f32 v45, v3, 0xbe903f40, v60
	v_mul_f32_e32 v49, 0x3f7d64f0, v58
	v_add_f32_e32 v44, v44, v51
	v_fma_f32 v19, 0xbf75a155, v16, -v19
	v_mul_f32_e32 v51, 0xbe11bafb, v4
	v_add_f32_e32 v45, v45, v52
	v_fmamk_f32 v52, v16, 0xbe11bafb, v49
	v_mul_f32_e32 v58, 0x3f0a6770, v58
	v_fma_f32 v49, 0xbe11bafb, v16, -v49
	v_add_f32_e32 v19, v19, v48
	v_fmamk_f32 v48, v3, 0xbf7d64f0, v51
	v_add_f32_e32 v52, v52, v55
	v_fmac_f32_e32 v51, 0x3f7d64f0, v3
	v_fmamk_f32 v55, v16, 0x3f575c64, v58
	v_add_f32_e32 v49, v49, v53
	v_sub_f32_e32 v53, v5, v10
	v_add_f32_e32 v48, v48, v56
	v_mul_f32_e32 v4, 0x3f575c64, v4
	v_add_f32_e32 v51, v51, v54
	v_add_f32_e32 v54, v55, v57
	v_add_f32_e32 v56, v25, v22
	v_mul_f32_e32 v57, 0xbf7d64f0, v53
	v_add_f32_e32 v5, v5, v10
	v_fmac_f32_e32 v60, 0x3e903f40, v3
	v_fmamk_f32 v55, v3, 0xbf0a6770, v4
	v_fma_f32 v10, 0x3f575c64, v16, -v58
	v_fmac_f32_e32 v4, 0x3f0a6770, v3
	v_sub_f32_e32 v3, v25, v22
	v_fmamk_f32 v16, v56, 0xbe11bafb, v57
	v_mul_f32_e32 v22, 0xbe11bafb, v5
	v_add_f32_e32 v0, v10, v0
	v_add_f32_e32 v1, v4, v1
	v_fma_f32 v25, 0xbe11bafb, v56, -v57
	v_add_f32_e32 v4, v16, v26
	v_fmamk_f32 v10, v3, 0x3f7d64f0, v22
	v_mul_f32_e32 v16, 0x3e903f40, v53
	v_fmac_f32_e32 v22, 0xbf7d64f0, v3
	v_mul_f32_e32 v26, 0xbf75a155, v5
	v_add_f32_e32 v18, v25, v18
	v_add_f32_e32 v2, v10, v2
	v_fmamk_f32 v10, v56, 0xbf75a155, v16
	v_add_f32_e32 v14, v22, v14
	v_fmamk_f32 v22, v3, 0xbe903f40, v26
	v_mul_f32_e32 v25, 0x3f68dda4, v53
	v_fmac_f32_e32 v26, 0x3e903f40, v3
	v_add_f32_e32 v10, v10, v15
	v_fma_f32 v15, 0xbf75a155, v56, -v16
	v_add_f32_e32 v16, v22, v24
	v_fmamk_f32 v22, v56, 0x3ed4b147, v25
	v_add_f32_e32 v23, v55, v23
	v_mul_f32_e32 v24, 0x3ed4b147, v5
	v_add_f32_e32 v11, v15, v11
	v_add_f32_e32 v15, v26, v17
	v_mul_f32_e32 v17, 0xbf0a6770, v53
	v_add_f32_e32 v22, v22, v44
	v_fma_f32 v25, 0x3ed4b147, v56, -v25
	v_mul_f32_e32 v55, 0x3f575c64, v5
	v_add_f32_e32 v50, v60, v50
	v_fmamk_f32 v44, v56, 0x3f575c64, v17
	v_fmamk_f32 v26, v3, 0xbf68dda4, v24
	v_fmac_f32_e32 v24, 0x3f68dda4, v3
	v_add_f32_e32 v19, v25, v19
	v_mul_f32_e32 v5, 0xbf27a4f4, v5
	v_add_f32_e32 v25, v44, v52
	v_fmamk_f32 v44, v3, 0x3f0a6770, v55
	v_fma_f32 v17, 0x3f575c64, v56, -v17
	v_fmac_f32_e32 v55, 0xbf0a6770, v3
	v_add_f32_e32 v24, v24, v50
	v_fmamk_f32 v50, v3, 0x3f4178ce, v5
	v_add_f32_e32 v26, v26, v45
	v_add_f32_e32 v17, v17, v49
	;; [unrolled: 1-line block ×3, first 2 shown]
	v_sub_f32_e32 v51, v6, v20
	v_mul_f32_e32 v45, 0xbf4178ce, v53
	v_add_f32_e32 v23, v50, v23
	v_add_f32_e32 v50, v27, v21
	;; [unrolled: 1-line block ×3, first 2 shown]
	v_mul_f32_e32 v20, 0xbf4178ce, v51
	v_fmac_f32_e32 v5, 0xbf4178ce, v3
	v_add_f32_e32 v44, v44, v48
	v_fmamk_f32 v48, v56, 0xbf27a4f4, v45
	v_fma_f32 v45, 0xbf27a4f4, v56, -v45
	v_sub_f32_e32 v3, v27, v21
	v_mul_f32_e32 v21, 0xbf27a4f4, v6
	v_fmamk_f32 v27, v50, 0xbf27a4f4, v20
	v_add_f32_e32 v1, v5, v1
	v_mul_f32_e32 v5, 0x3f7d64f0, v51
	v_add_f32_e32 v0, v45, v0
	v_fmamk_f32 v45, v3, 0x3f4178ce, v21
	v_add_f32_e32 v4, v27, v4
	v_fma_f32 v20, 0xbf27a4f4, v50, -v20
	v_fmamk_f32 v27, v50, 0xbe11bafb, v5
	v_fmac_f32_e32 v21, 0xbf4178ce, v3
	v_add_f32_e32 v2, v45, v2
	v_mul_f32_e32 v45, 0xbe11bafb, v6
	v_add_f32_e32 v18, v20, v18
	v_add_f32_e32 v20, v27, v10
	v_mul_f32_e32 v10, 0xbf0a6770, v51
	v_add_f32_e32 v14, v21, v14
	v_fmamk_f32 v21, v3, 0xbf7d64f0, v45
	v_fma_f32 v5, 0xbe11bafb, v50, -v5
	v_mul_f32_e32 v27, 0x3f575c64, v6
	v_fmamk_f32 v52, v50, 0x3f575c64, v10
	v_fmac_f32_e32 v45, 0x3f7d64f0, v3
	v_add_f32_e32 v16, v21, v16
	v_add_f32_e32 v5, v5, v11
	v_fmamk_f32 v11, v3, 0x3f0a6770, v27
	v_add_f32_e32 v21, v52, v22
	v_mul_f32_e32 v22, 0xbe903f40, v51
	v_fma_f32 v10, 0x3f575c64, v50, -v10
	v_add_f32_e32 v15, v45, v15
	v_fmac_f32_e32 v27, 0xbf0a6770, v3
	v_add_f32_e32 v26, v11, v26
	v_mul_f32_e32 v11, 0xbf75a155, v6
	v_fmamk_f32 v45, v50, 0xbf75a155, v22
	v_add_f32_e32 v19, v10, v19
	v_mul_f32_e32 v10, 0x3f68dda4, v51
	v_fma_f32 v22, 0xbf75a155, v50, -v22
	v_add_f32_e32 v24, v27, v24
	v_fmamk_f32 v27, v3, 0x3e903f40, v11
	v_add_f32_e32 v25, v45, v25
	v_fmac_f32_e32 v11, 0xbe903f40, v3
	v_fmamk_f32 v45, v50, 0x3ed4b147, v10
	v_mul_f32_e32 v6, 0x3ed4b147, v6
	v_add_f32_e32 v22, v22, v17
	v_sub_f32_e32 v17, v12, v13
	v_fma_f32 v10, 0x3ed4b147, v50, -v10
	v_add_f32_e32 v50, v12, v13
	v_add_f32_e32 v49, v11, v49
	v_fmamk_f32 v11, v3, 0xbf68dda4, v6
	v_add_f32_e32 v51, v61, v7
	v_mul_f32_e32 v12, 0xbe903f40, v17
	v_fmac_f32_e32 v6, 0x3f68dda4, v3
	v_sub_f32_e32 v3, v61, v7
	v_mul_f32_e32 v7, 0xbf75a155, v50
	v_add_f32_e32 v23, v11, v23
	v_fmamk_f32 v11, v51, 0xbf75a155, v12
	v_add_f32_e32 v1, v6, v1
	v_mul_f32_e32 v13, 0x3f0a6770, v17
	v_fmamk_f32 v6, v3, 0x3e903f40, v7
	v_add_f32_e32 v0, v10, v0
	v_add_f32_e32 v10, v11, v4
	v_fma_f32 v4, 0xbf75a155, v51, -v12
	v_mul_f32_e32 v52, 0x3f575c64, v50
	v_add_f32_e32 v11, v6, v2
	v_fmamk_f32 v2, v51, 0x3f575c64, v13
	v_add_f32_e32 v48, v48, v54
	v_add_f32_e32 v27, v27, v44
	v_fmac_f32_e32 v7, 0xbe903f40, v3
	v_add_f32_e32 v44, v4, v18
	v_mul_f32_e32 v4, 0xbf4178ce, v17
	v_add_f32_e32 v12, v2, v20
	v_fmamk_f32 v2, v3, 0xbf0a6770, v52
	v_mul_f32_e32 v18, 0xbf27a4f4, v50
	v_add_f32_e32 v48, v45, v48
	v_add_f32_e32 v45, v7, v14
	v_fma_f32 v6, 0x3f575c64, v51, -v13
	v_fmac_f32_e32 v52, 0x3f0a6770, v3
	v_fmamk_f32 v14, v51, 0xbf27a4f4, v4
	v_add_f32_e32 v13, v2, v16
	v_fmamk_f32 v2, v3, 0x3f4178ce, v18
	v_mul_f32_e32 v16, 0x3f68dda4, v17
	v_fma_f32 v4, 0xbf27a4f4, v51, -v4
	v_fmac_f32_e32 v18, 0xbf4178ce, v3
	v_mul_f32_e32 v20, 0x3ed4b147, v50
	v_add_f32_e32 v6, v6, v5
	v_add_f32_e32 v7, v52, v15
	;; [unrolled: 1-line block ×4, first 2 shown]
	v_fmamk_f32 v2, v51, 0x3ed4b147, v16
	v_add_f32_e32 v4, v4, v19
	v_add_f32_e32 v5, v18, v24
	v_fmamk_f32 v18, v3, 0xbf68dda4, v20
	v_fma_f32 v19, 0x3ed4b147, v51, -v16
	v_mul_f32_e32 v21, 0xbf7d64f0, v17
	v_mul_f32_e32 v24, 0xbe11bafb, v50
	v_add_f32_e32 v16, v2, v25
	v_add_f32_e32 v17, v18, v27
	;; [unrolled: 1-line block ×3, first 2 shown]
	v_fmamk_f32 v18, v51, 0xbe11bafb, v21
	v_fmamk_f32 v19, v3, 0x3f7d64f0, v24
	v_fmac_f32_e32 v20, 0x3f68dda4, v3
	v_fma_f32 v21, 0xbe11bafb, v51, -v21
	v_fmac_f32_e32 v24, 0xbf7d64f0, v3
	v_add_f32_e32 v18, v18, v48
	v_add_f32_e32 v19, v19, v23
	;; [unrolled: 1-line block ×5, first 2 shown]
	ds_write2_b64 v97, v[8:9], v[10:11] offset1:17
	ds_write2_b64 v97, v[12:13], v[14:15] offset0:34 offset1:51
	ds_write2_b64 v97, v[16:17], v[18:19] offset0:68 offset1:85
	;; [unrolled: 1-line block ×4, first 2 shown]
	ds_write_b64 v97, v[44:45] offset:1360
	v_add_nc_u32_e32 v12, 0xa00, v95
	v_add_nc_u32_e32 v13, 0x1600, v95
	s_waitcnt lgkmcnt(0)
	s_barrier
	buffer_gl0_inv
	ds_read2_b64 v[8:11], v95 offset1:187
	ds_read2_b64 v[16:19], v12 offset0:54 offset1:241
	ds_read2_b64 v[12:15], v13 offset0:44 offset1:231
	s_and_saveexec_b32 s1, s0
	s_cbranch_execz .LBB0_19
; %bb.18:
	v_add_nc_u32_e32 v0, 0x200, v95
	v_add_nc_u32_e32 v4, 0xe00, v95
	;; [unrolled: 1-line block ×3, first 2 shown]
	ds_read2_b64 v[0:3], v0 offset0:38 offset1:225
	ds_read2_b64 v[4:7], v4 offset0:28 offset1:215
	;; [unrolled: 1-line block ×3, first 2 shown]
.LBB0_19:
	s_or_b32 exec_lo, exec_lo, s1
	s_waitcnt lgkmcnt(2)
	v_mul_f32_e32 v20, v41, v11
	v_mul_f32_e32 v21, v41, v10
	s_waitcnt lgkmcnt(1)
	v_mul_f32_e32 v22, v43, v17
	v_mul_f32_e32 v23, v43, v16
	v_fmac_f32_e32 v20, v40, v10
	v_fma_f32 v10, v40, v11, -v21
	v_mul_f32_e32 v11, v37, v19
	v_fmac_f32_e32 v22, v42, v16
	s_waitcnt lgkmcnt(0)
	v_mul_f32_e32 v16, v39, v13
	v_mul_f32_e32 v21, v37, v18
	v_fma_f32 v17, v42, v17, -v23
	v_fmac_f32_e32 v11, v36, v18
	v_mul_f32_e32 v18, v39, v12
	v_fmac_f32_e32 v16, v38, v12
	v_mul_f32_e32 v12, v78, v15
	v_fma_f32 v19, v36, v19, -v21
	v_mul_f32_e32 v21, v78, v14
	v_fma_f32 v13, v38, v13, -v18
	v_add_f32_e32 v18, v22, v16
	v_fmac_f32_e32 v12, v77, v14
	v_add_f32_e32 v14, v8, v22
	v_fma_f32 v15, v77, v15, -v21
	v_add_f32_e32 v21, v17, v13
	v_fma_f32 v18, -0.5, v18, v8
	v_sub_f32_e32 v8, v17, v13
	v_add_f32_e32 v14, v14, v16
	v_add_f32_e32 v17, v9, v17
	v_fma_f32 v21, -0.5, v21, v9
	v_sub_f32_e32 v9, v22, v16
	v_fmamk_f32 v16, v8, 0xbf5db3d7, v18
	v_fmac_f32_e32 v18, 0x3f5db3d7, v8
	v_add_f32_e32 v8, v19, v15
	v_add_f32_e32 v17, v17, v13
	;; [unrolled: 1-line block ×4, first 2 shown]
	v_fmamk_f32 v22, v9, 0x3f5db3d7, v21
	v_fmac_f32_e32 v10, -0.5, v8
	v_sub_f32_e32 v8, v11, v12
	v_add_f32_e32 v11, v20, v11
	v_fmac_f32_e32 v20, -0.5, v13
	v_sub_f32_e32 v13, v19, v15
	v_fmac_f32_e32 v21, 0xbf5db3d7, v9
	v_fmamk_f32 v9, v8, 0x3f5db3d7, v10
	v_fmac_f32_e32 v10, 0xbf5db3d7, v8
	v_add_f32_e32 v19, v11, v12
	v_fmamk_f32 v11, v13, 0xbf5db3d7, v20
	v_add_f32_e32 v15, v23, v15
	v_mul_f32_e32 v24, 0xbf5db3d7, v9
	v_mul_f32_e32 v23, 0.5, v9
	v_fmac_f32_e32 v20, 0x3f5db3d7, v13
	v_mul_f32_e32 v25, 0xbf5db3d7, v10
	v_mul_f32_e32 v26, -0.5, v10
	v_fmac_f32_e32 v24, 0.5, v11
	v_fmac_f32_e32 v23, 0x3f5db3d7, v11
	v_add_f32_e32 v8, v14, v19
	v_fmac_f32_e32 v25, -0.5, v20
	v_fmac_f32_e32 v26, 0x3f5db3d7, v20
	v_add_f32_e32 v10, v16, v24
	v_add_f32_e32 v9, v17, v15
	;; [unrolled: 1-line block ×5, first 2 shown]
	v_sub_f32_e32 v14, v14, v19
	v_sub_f32_e32 v15, v17, v15
	v_add_nc_u32_e32 v20, 0xa00, v96
	v_sub_f32_e32 v16, v16, v24
	v_sub_f32_e32 v18, v18, v25
	;; [unrolled: 1-line block ×4, first 2 shown]
	v_add_nc_u32_e32 v21, 0x1600, v96
	ds_write2_b64 v96, v[8:9], v[10:11] offset1:187
	ds_write2_b64 v20, v[12:13], v[14:15] offset0:54 offset1:241
	ds_write2_b64 v21, v[16:17], v[18:19] offset0:44 offset1:231
	s_and_saveexec_b32 s1, s0
	s_cbranch_execz .LBB0_21
; %bb.20:
	v_mul_f32_e32 v11, v29, v6
	v_mul_f32_e32 v12, v76, v46
	;; [unrolled: 1-line block ×7, first 2 shown]
	v_fma_f32 v7, v28, v7, -v11
	v_fma_f32 v12, v75, v47, -v12
	;; [unrolled: 1-line block ×4, first 2 shown]
	v_mul_f32_e32 v15, v33, v3
	v_fmac_f32_e32 v10, v28, v6
	v_fmac_f32_e32 v13, v75, v46
	v_fma_f32 v3, v32, v3, -v14
	v_add_f32_e32 v6, v7, v12
	v_mul_f32_e32 v5, v35, v5
	v_mul_f32_e32 v14, v31, v45
	v_add_f32_e32 v11, v9, v8
	v_fmac_f32_e32 v15, v32, v2
	v_add_f32_e32 v2, v10, v13
	v_fma_f32 v6, -0.5, v6, v3
	v_sub_f32_e32 v16, v10, v13
	v_fmac_f32_e32 v5, v34, v4
	v_fmac_f32_e32 v14, v30, v44
	v_fma_f32 v4, -0.5, v2, v15
	v_sub_f32_e32 v17, v7, v12
	v_fmamk_f32 v18, v16, 0xbf5db3d7, v6
	v_fma_f32 v11, -0.5, v11, v1
	v_fmac_f32_e32 v6, 0x3f5db3d7, v16
	v_add_f32_e32 v16, v14, v5
	v_add_f32_e32 v1, v8, v1
	v_sub_f32_e32 v19, v5, v14
	v_fmamk_f32 v20, v17, 0x3f5db3d7, v4
	v_fmac_f32_e32 v4, 0xbf5db3d7, v17
	v_mul_f32_e32 v17, 0.5, v6
	v_add_f32_e32 v3, v7, v3
	v_fma_f32 v16, -0.5, v16, v0
	v_sub_f32_e32 v7, v8, v9
	v_add_f32_e32 v9, v9, v1
	v_mul_f32_e32 v23, 0xbf5db3d7, v6
	v_add_f32_e32 v0, v5, v0
	v_add_f32_e32 v1, v10, v15
	v_mul_f32_e32 v21, -0.5, v18
	v_mul_f32_e32 v18, 0xbf5db3d7, v18
	v_fmamk_f32 v22, v19, 0xbf5db3d7, v11
	v_fmac_f32_e32 v11, 0x3f5db3d7, v19
	v_fmac_f32_e32 v17, 0x3f5db3d7, v4
	v_add_f32_e32 v12, v12, v3
	v_fmamk_f32 v19, v7, 0x3f5db3d7, v16
	v_fmac_f32_e32 v16, 0xbf5db3d7, v7
	v_fmac_f32_e32 v23, 0.5, v4
	v_add_f32_e32 v0, v14, v0
	v_add_f32_e32 v13, v13, v1
	v_fmac_f32_e32 v21, 0x3f5db3d7, v20
	v_fmac_f32_e32 v18, -0.5, v20
	v_sub_f32_e32 v4, v11, v17
	v_sub_f32_e32 v6, v9, v12
	;; [unrolled: 1-line block ×3, first 2 shown]
	v_add_f32_e32 v10, v11, v17
	v_add_f32_e32 v12, v9, v12
	;; [unrolled: 1-line block ×4, first 2 shown]
	v_add_nc_u32_e32 v0, 0x200, v96
	v_add_f32_e32 v8, v22, v21
	v_add_f32_e32 v7, v19, v18
	v_add_nc_u32_e32 v13, 0xe00, v96
	v_sub_f32_e32 v2, v22, v21
	v_sub_f32_e32 v1, v19, v18
	;; [unrolled: 1-line block ×3, first 2 shown]
	v_add_nc_u32_e32 v14, 0x1a00, v96
	ds_write2_b64 v0, v[11:12], v[9:10] offset0:38 offset1:225
	ds_write2_b64 v13, v[7:8], v[5:6] offset0:28 offset1:215
	;; [unrolled: 1-line block ×3, first 2 shown]
.LBB0_21:
	s_or_b32 exec_lo, exec_lo, s1
	s_waitcnt lgkmcnt(0)
	s_barrier
	buffer_gl0_inv
	s_and_b32 exec_lo, exec_lo, vcc_lo
	s_cbranch_execz .LBB0_23
; %bb.22:
	global_load_dwordx2 v[0:1], v91, s[12:13]
	ds_read_b64 v[2:3], v96
	s_mov_b32 s0, 0x4bc01d34
	s_mov_b32 s1, 0x3f4d347a
	v_mad_u64_u32 v[6:7], null, s4, v92, 0
	s_mul_i32 s2, s5, 0x210
	s_mul_i32 s3, s4, 0x210
	s_waitcnt vmcnt(0) lgkmcnt(0)
	v_mul_f32_e32 v4, v3, v1
	v_mul_f32_e32 v1, v2, v1
	v_fmac_f32_e32 v4, v2, v0
	v_fma_f32 v2, v0, v3, -v1
	v_cvt_f64_f32_e32 v[0:1], v4
	v_cvt_f64_f32_e32 v[2:3], v2
	v_mad_u64_u32 v[4:5], null, s6, v72, 0
	v_mad_u64_u32 v[8:9], null, s7, v72, v[5:6]
	;; [unrolled: 1-line block ×3, first 2 shown]
	v_mov_b32_e32 v5, v8
	s_mul_hi_u32 s5, s4, 0x210
	v_mul_f64 v[0:1], v[0:1], s[0:1]
	v_mul_f64 v[2:3], v[2:3], s[0:1]
	s_add_i32 s2, s5, s2
	v_add_co_u32 v10, s4, s12, v91
	v_mov_b32_e32 v7, v9
	v_add_co_ci_u32_e64 v11, null, s13, 0, s4
	v_cvt_f32_f64_e32 v0, v[0:1]
	v_cvt_f32_f64_e32 v1, v[2:3]
	v_lshlrev_b64 v[2:3], 3, v[4:5]
	v_lshlrev_b64 v[4:5], 3, v[6:7]
	v_add_co_u32 v2, vcc_lo, s14, v2
	v_add_co_ci_u32_e32 v3, vcc_lo, s15, v3, vcc_lo
	v_add_co_u32 v4, vcc_lo, v2, v4
	v_add_co_ci_u32_e32 v5, vcc_lo, v3, v5, vcc_lo
	global_store_dwordx2 v[4:5], v[0:1], off
	global_load_dwordx2 v[6:7], v91, s[12:13] offset:528
	ds_read2_b64 v[0:3], v96 offset0:66 offset1:132
	v_add_co_u32 v4, vcc_lo, v4, s3
	v_add_co_ci_u32_e32 v5, vcc_lo, s2, v5, vcc_lo
	s_waitcnt vmcnt(0) lgkmcnt(0)
	v_mul_f32_e32 v8, v1, v7
	v_mul_f32_e32 v7, v0, v7
	v_fmac_f32_e32 v8, v0, v6
	v_fma_f32 v6, v6, v1, -v7
	v_cvt_f64_f32_e32 v[0:1], v8
	v_cvt_f64_f32_e32 v[6:7], v6
	v_mul_f64 v[0:1], v[0:1], s[0:1]
	v_mul_f64 v[6:7], v[6:7], s[0:1]
	v_cvt_f32_f64_e32 v0, v[0:1]
	v_cvt_f32_f64_e32 v1, v[6:7]
	global_store_dwordx2 v[4:5], v[0:1], off
	global_load_dwordx2 v[0:1], v91, s[12:13] offset:1056
	v_add_co_u32 v4, vcc_lo, v4, s3
	v_add_co_ci_u32_e32 v5, vcc_lo, s2, v5, vcc_lo
	s_waitcnt vmcnt(0)
	v_mul_f32_e32 v6, v3, v1
	v_mul_f32_e32 v1, v2, v1
	v_fmac_f32_e32 v6, v2, v0
	v_fma_f32 v2, v0, v3, -v1
	v_cvt_f64_f32_e32 v[0:1], v6
	v_cvt_f64_f32_e32 v[2:3], v2
	v_mul_f64 v[0:1], v[0:1], s[0:1]
	v_mul_f64 v[2:3], v[2:3], s[0:1]
	v_cvt_f32_f64_e32 v0, v[0:1]
	v_cvt_f32_f64_e32 v1, v[2:3]
	global_store_dwordx2 v[4:5], v[0:1], off
	global_load_dwordx2 v[6:7], v91, s[12:13] offset:1584
	v_add_nc_u32_e32 v0, 0x400, v96
	v_add_co_u32 v4, vcc_lo, v4, s3
	v_add_co_ci_u32_e32 v5, vcc_lo, s2, v5, vcc_lo
	ds_read2_b64 v[0:3], v0 offset0:70 offset1:136
	s_waitcnt vmcnt(0) lgkmcnt(0)
	v_mul_f32_e32 v8, v1, v7
	v_mul_f32_e32 v7, v0, v7
	v_fmac_f32_e32 v8, v0, v6
	v_fma_f32 v6, v6, v1, -v7
	v_cvt_f64_f32_e32 v[0:1], v8
	v_cvt_f64_f32_e32 v[6:7], v6
	v_mul_f64 v[0:1], v[0:1], s[0:1]
	v_mul_f64 v[6:7], v[6:7], s[0:1]
	v_cvt_f32_f64_e32 v0, v[0:1]
	v_cvt_f32_f64_e32 v1, v[6:7]
	v_add_co_u32 v6, vcc_lo, 0x800, v10
	v_add_co_ci_u32_e32 v7, vcc_lo, 0, v11, vcc_lo
	global_store_dwordx2 v[4:5], v[0:1], off
	global_load_dwordx2 v[0:1], v[6:7], off offset:64
	v_add_co_u32 v4, vcc_lo, v4, s3
	v_add_co_ci_u32_e32 v5, vcc_lo, s2, v5, vcc_lo
	s_waitcnt vmcnt(0)
	v_mul_f32_e32 v8, v3, v1
	v_mul_f32_e32 v1, v2, v1
	v_fmac_f32_e32 v8, v2, v0
	v_fma_f32 v2, v0, v3, -v1
	v_cvt_f64_f32_e32 v[0:1], v8
	v_cvt_f64_f32_e32 v[2:3], v2
	v_mul_f64 v[0:1], v[0:1], s[0:1]
	v_mul_f64 v[2:3], v[2:3], s[0:1]
	v_cvt_f32_f64_e32 v0, v[0:1]
	v_cvt_f32_f64_e32 v1, v[2:3]
	global_store_dwordx2 v[4:5], v[0:1], off
	global_load_dwordx2 v[8:9], v[6:7], off offset:592
	v_add_nc_u32_e32 v0, 0x800, v96
	v_add_co_u32 v4, vcc_lo, v4, s3
	v_add_co_ci_u32_e32 v5, vcc_lo, s2, v5, vcc_lo
	ds_read2_b64 v[0:3], v0 offset0:74 offset1:140
	s_waitcnt vmcnt(0) lgkmcnt(0)
	v_mul_f32_e32 v12, v1, v9
	v_mul_f32_e32 v9, v0, v9
	v_fmac_f32_e32 v12, v0, v8
	v_fma_f32 v8, v8, v1, -v9
	v_cvt_f64_f32_e32 v[0:1], v12
	v_cvt_f64_f32_e32 v[8:9], v8
	v_mul_f64 v[0:1], v[0:1], s[0:1]
	v_mul_f64 v[8:9], v[8:9], s[0:1]
	v_cvt_f32_f64_e32 v0, v[0:1]
	v_cvt_f32_f64_e32 v1, v[8:9]
	global_store_dwordx2 v[4:5], v[0:1], off
	global_load_dwordx2 v[0:1], v[6:7], off offset:1120
	v_add_co_u32 v4, vcc_lo, v4, s3
	v_add_co_ci_u32_e32 v5, vcc_lo, s2, v5, vcc_lo
	s_waitcnt vmcnt(0)
	v_mul_f32_e32 v8, v3, v1
	v_mul_f32_e32 v1, v2, v1
	v_fmac_f32_e32 v8, v2, v0
	v_fma_f32 v2, v0, v3, -v1
	v_cvt_f64_f32_e32 v[0:1], v8
	v_cvt_f64_f32_e32 v[2:3], v2
	v_mul_f64 v[0:1], v[0:1], s[0:1]
	v_mul_f64 v[2:3], v[2:3], s[0:1]
	v_cvt_f32_f64_e32 v0, v[0:1]
	v_cvt_f32_f64_e32 v1, v[2:3]
	global_store_dwordx2 v[4:5], v[0:1], off
	global_load_dwordx2 v[6:7], v[6:7], off offset:1648
	v_add_nc_u32_e32 v0, 0xc00, v96
	v_add_co_u32 v4, vcc_lo, v4, s3
	v_add_co_ci_u32_e32 v5, vcc_lo, s2, v5, vcc_lo
	ds_read2_b64 v[0:3], v0 offset0:78 offset1:144
	s_waitcnt vmcnt(0) lgkmcnt(0)
	v_mul_f32_e32 v8, v1, v7
	v_mul_f32_e32 v7, v0, v7
	v_fmac_f32_e32 v8, v0, v6
	v_fma_f32 v6, v6, v1, -v7
	v_cvt_f64_f32_e32 v[0:1], v8
	v_cvt_f64_f32_e32 v[6:7], v6
	v_mul_f64 v[0:1], v[0:1], s[0:1]
	v_mul_f64 v[6:7], v[6:7], s[0:1]
	v_cvt_f32_f64_e32 v0, v[0:1]
	v_cvt_f32_f64_e32 v1, v[6:7]
	v_add_co_u32 v6, vcc_lo, 0x1000, v10
	v_add_co_ci_u32_e32 v7, vcc_lo, 0, v11, vcc_lo
	global_store_dwordx2 v[4:5], v[0:1], off
	global_load_dwordx2 v[0:1], v[6:7], off offset:128
	v_add_co_u32 v4, vcc_lo, v4, s3
	v_add_co_ci_u32_e32 v5, vcc_lo, s2, v5, vcc_lo
	s_waitcnt vmcnt(0)
	v_mul_f32_e32 v8, v3, v1
	v_mul_f32_e32 v1, v2, v1
	v_fmac_f32_e32 v8, v2, v0
	v_fma_f32 v2, v0, v3, -v1
	v_cvt_f64_f32_e32 v[0:1], v8
	v_cvt_f64_f32_e32 v[2:3], v2
	v_mul_f64 v[0:1], v[0:1], s[0:1]
	v_mul_f64 v[2:3], v[2:3], s[0:1]
	v_cvt_f32_f64_e32 v0, v[0:1]
	v_cvt_f32_f64_e32 v1, v[2:3]
	global_store_dwordx2 v[4:5], v[0:1], off
	global_load_dwordx2 v[8:9], v[6:7], off offset:656
	v_add_nc_u32_e32 v0, 0x1000, v96
	v_add_co_u32 v4, vcc_lo, v4, s3
	v_add_co_ci_u32_e32 v5, vcc_lo, s2, v5, vcc_lo
	ds_read2_b64 v[0:3], v0 offset0:82 offset1:148
	s_waitcnt vmcnt(0) lgkmcnt(0)
	v_mul_f32_e32 v12, v1, v9
	v_mul_f32_e32 v9, v0, v9
	v_fmac_f32_e32 v12, v0, v8
	v_fma_f32 v8, v8, v1, -v9
	v_cvt_f64_f32_e32 v[0:1], v12
	v_cvt_f64_f32_e32 v[8:9], v8
	v_mul_f64 v[0:1], v[0:1], s[0:1]
	v_mul_f64 v[8:9], v[8:9], s[0:1]
	v_cvt_f32_f64_e32 v0, v[0:1]
	v_cvt_f32_f64_e32 v1, v[8:9]
	global_store_dwordx2 v[4:5], v[0:1], off
	global_load_dwordx2 v[0:1], v[6:7], off offset:1184
	v_add_co_u32 v4, vcc_lo, v4, s3
	v_add_co_ci_u32_e32 v5, vcc_lo, s2, v5, vcc_lo
	s_waitcnt vmcnt(0)
	v_mul_f32_e32 v8, v3, v1
	v_mul_f32_e32 v1, v2, v1
	v_fmac_f32_e32 v8, v2, v0
	v_fma_f32 v2, v0, v3, -v1
	v_cvt_f64_f32_e32 v[0:1], v8
	v_cvt_f64_f32_e32 v[2:3], v2
	v_mul_f64 v[0:1], v[0:1], s[0:1]
	v_mul_f64 v[2:3], v[2:3], s[0:1]
	v_cvt_f32_f64_e32 v0, v[0:1]
	v_cvt_f32_f64_e32 v1, v[2:3]
	global_store_dwordx2 v[4:5], v[0:1], off
	global_load_dwordx2 v[6:7], v[6:7], off offset:1712
	v_add_nc_u32_e32 v0, 0x1400, v96
	v_add_co_u32 v4, vcc_lo, v4, s3
	v_add_co_ci_u32_e32 v5, vcc_lo, s2, v5, vcc_lo
	ds_read2_b64 v[0:3], v0 offset0:86 offset1:152
	s_waitcnt vmcnt(0) lgkmcnt(0)
	v_mul_f32_e32 v8, v1, v7
	v_mul_f32_e32 v7, v0, v7
	v_fmac_f32_e32 v8, v0, v6
	v_fma_f32 v6, v6, v1, -v7
	v_cvt_f64_f32_e32 v[0:1], v8
	v_cvt_f64_f32_e32 v[6:7], v6
	v_mul_f64 v[0:1], v[0:1], s[0:1]
	v_mul_f64 v[6:7], v[6:7], s[0:1]
	v_cvt_f32_f64_e32 v0, v[0:1]
	v_cvt_f32_f64_e32 v1, v[6:7]
	v_add_co_u32 v6, vcc_lo, 0x1800, v10
	v_add_co_ci_u32_e32 v7, vcc_lo, 0, v11, vcc_lo
	global_store_dwordx2 v[4:5], v[0:1], off
	global_load_dwordx2 v[0:1], v[6:7], off offset:192
	v_add_co_u32 v4, vcc_lo, v4, s3
	v_add_co_ci_u32_e32 v5, vcc_lo, s2, v5, vcc_lo
	s_waitcnt vmcnt(0)
	v_mul_f32_e32 v8, v3, v1
	v_mul_f32_e32 v1, v2, v1
	v_fmac_f32_e32 v8, v2, v0
	v_fma_f32 v2, v0, v3, -v1
	v_cvt_f64_f32_e32 v[0:1], v8
	v_cvt_f64_f32_e32 v[2:3], v2
	v_mul_f64 v[0:1], v[0:1], s[0:1]
	v_mul_f64 v[2:3], v[2:3], s[0:1]
	v_cvt_f32_f64_e32 v0, v[0:1]
	v_cvt_f32_f64_e32 v1, v[2:3]
	global_store_dwordx2 v[4:5], v[0:1], off
	global_load_dwordx2 v[8:9], v[6:7], off offset:720
	v_add_nc_u32_e32 v0, 0x1800, v96
	v_add_co_u32 v4, vcc_lo, v4, s3
	v_add_co_ci_u32_e32 v5, vcc_lo, s2, v5, vcc_lo
	ds_read2_b64 v[0:3], v0 offset0:90 offset1:156
	s_waitcnt vmcnt(0) lgkmcnt(0)
	v_mul_f32_e32 v12, v1, v9
	v_mul_f32_e32 v9, v0, v9
	v_fmac_f32_e32 v12, v0, v8
	v_fma_f32 v8, v8, v1, -v9
	v_cvt_f64_f32_e32 v[0:1], v12
	v_cvt_f64_f32_e32 v[8:9], v8
	v_mul_f64 v[0:1], v[0:1], s[0:1]
	v_mul_f64 v[8:9], v[8:9], s[0:1]
	v_cvt_f32_f64_e32 v0, v[0:1]
	v_cvt_f32_f64_e32 v1, v[8:9]
	global_store_dwordx2 v[4:5], v[0:1], off
	global_load_dwordx2 v[0:1], v[6:7], off offset:1248
	v_add_co_u32 v4, vcc_lo, v4, s3
	v_add_co_ci_u32_e32 v5, vcc_lo, s2, v5, vcc_lo
	s_waitcnt vmcnt(0)
	v_mul_f32_e32 v8, v3, v1
	v_mul_f32_e32 v1, v2, v1
	v_fmac_f32_e32 v8, v2, v0
	v_fma_f32 v2, v0, v3, -v1
	v_cvt_f64_f32_e32 v[0:1], v8
	v_cvt_f64_f32_e32 v[2:3], v2
	v_mul_f64 v[0:1], v[0:1], s[0:1]
	v_mul_f64 v[2:3], v[2:3], s[0:1]
	v_cvt_f32_f64_e32 v0, v[0:1]
	v_cvt_f32_f64_e32 v1, v[2:3]
	global_store_dwordx2 v[4:5], v[0:1], off
	global_load_dwordx2 v[6:7], v[6:7], off offset:1776
	v_add_nc_u32_e32 v0, 0x1c00, v96
	v_add_co_u32 v4, vcc_lo, v4, s3
	v_add_co_ci_u32_e32 v5, vcc_lo, s2, v5, vcc_lo
	ds_read2_b64 v[0:3], v0 offset0:94 offset1:160
	s_waitcnt vmcnt(0) lgkmcnt(0)
	v_mul_f32_e32 v8, v1, v7
	v_mul_f32_e32 v7, v0, v7
	v_fmac_f32_e32 v8, v0, v6
	v_fma_f32 v6, v6, v1, -v7
	v_cvt_f64_f32_e32 v[0:1], v8
	v_cvt_f64_f32_e32 v[6:7], v6
	v_mul_f64 v[0:1], v[0:1], s[0:1]
	v_mul_f64 v[6:7], v[6:7], s[0:1]
	v_cvt_f32_f64_e32 v0, v[0:1]
	v_cvt_f32_f64_e32 v1, v[6:7]
	v_add_co_u32 v6, vcc_lo, 0x2000, v10
	v_add_co_ci_u32_e32 v7, vcc_lo, 0, v11, vcc_lo
	global_store_dwordx2 v[4:5], v[0:1], off
	global_load_dwordx2 v[0:1], v[6:7], off offset:256
	s_waitcnt vmcnt(0)
	v_mul_f32_e32 v6, v3, v1
	v_mul_f32_e32 v1, v2, v1
	v_fmac_f32_e32 v6, v2, v0
	v_fma_f32 v2, v0, v3, -v1
	v_cvt_f64_f32_e32 v[0:1], v6
	v_cvt_f64_f32_e32 v[2:3], v2
	v_mul_f64 v[0:1], v[0:1], s[0:1]
	v_mul_f64 v[2:3], v[2:3], s[0:1]
	v_cvt_f32_f64_e32 v0, v[0:1]
	v_cvt_f32_f64_e32 v1, v[2:3]
	v_add_co_u32 v2, vcc_lo, v4, s3
	v_add_co_ci_u32_e32 v3, vcc_lo, s2, v5, vcc_lo
	global_store_dwordx2 v[2:3], v[0:1], off
.LBB0_23:
	s_endpgm
	.section	.rodata,"a",@progbits
	.p2align	6, 0x0
	.amdhsa_kernel bluestein_single_back_len1122_dim1_sp_op_CI_CI
		.amdhsa_group_segment_fixed_size 17952
		.amdhsa_private_segment_fixed_size 0
		.amdhsa_kernarg_size 104
		.amdhsa_user_sgpr_count 6
		.amdhsa_user_sgpr_private_segment_buffer 1
		.amdhsa_user_sgpr_dispatch_ptr 0
		.amdhsa_user_sgpr_queue_ptr 0
		.amdhsa_user_sgpr_kernarg_segment_ptr 1
		.amdhsa_user_sgpr_dispatch_id 0
		.amdhsa_user_sgpr_flat_scratch_init 0
		.amdhsa_user_sgpr_private_segment_size 0
		.amdhsa_wavefront_size32 1
		.amdhsa_uses_dynamic_stack 0
		.amdhsa_system_sgpr_private_segment_wavefront_offset 0
		.amdhsa_system_sgpr_workgroup_id_x 1
		.amdhsa_system_sgpr_workgroup_id_y 0
		.amdhsa_system_sgpr_workgroup_id_z 0
		.amdhsa_system_sgpr_workgroup_info 0
		.amdhsa_system_vgpr_workitem_id 0
		.amdhsa_next_free_vgpr 232
		.amdhsa_next_free_sgpr 16
		.amdhsa_reserve_vcc 1
		.amdhsa_reserve_flat_scratch 0
		.amdhsa_float_round_mode_32 0
		.amdhsa_float_round_mode_16_64 0
		.amdhsa_float_denorm_mode_32 3
		.amdhsa_float_denorm_mode_16_64 3
		.amdhsa_dx10_clamp 1
		.amdhsa_ieee_mode 1
		.amdhsa_fp16_overflow 0
		.amdhsa_workgroup_processor_mode 1
		.amdhsa_memory_ordered 1
		.amdhsa_forward_progress 0
		.amdhsa_shared_vgpr_count 0
		.amdhsa_exception_fp_ieee_invalid_op 0
		.amdhsa_exception_fp_denorm_src 0
		.amdhsa_exception_fp_ieee_div_zero 0
		.amdhsa_exception_fp_ieee_overflow 0
		.amdhsa_exception_fp_ieee_underflow 0
		.amdhsa_exception_fp_ieee_inexact 0
		.amdhsa_exception_int_div_zero 0
	.end_amdhsa_kernel
	.text
.Lfunc_end0:
	.size	bluestein_single_back_len1122_dim1_sp_op_CI_CI, .Lfunc_end0-bluestein_single_back_len1122_dim1_sp_op_CI_CI
                                        ; -- End function
	.section	.AMDGPU.csdata,"",@progbits
; Kernel info:
; codeLenInByte = 21088
; NumSgprs: 18
; NumVgprs: 232
; ScratchSize: 0
; MemoryBound: 0
; FloatMode: 240
; IeeeMode: 1
; LDSByteSize: 17952 bytes/workgroup (compile time only)
; SGPRBlocks: 2
; VGPRBlocks: 28
; NumSGPRsForWavesPerEU: 18
; NumVGPRsForWavesPerEU: 232
; Occupancy: 4
; WaveLimiterHint : 1
; COMPUTE_PGM_RSRC2:SCRATCH_EN: 0
; COMPUTE_PGM_RSRC2:USER_SGPR: 6
; COMPUTE_PGM_RSRC2:TRAP_HANDLER: 0
; COMPUTE_PGM_RSRC2:TGID_X_EN: 1
; COMPUTE_PGM_RSRC2:TGID_Y_EN: 0
; COMPUTE_PGM_RSRC2:TGID_Z_EN: 0
; COMPUTE_PGM_RSRC2:TIDIG_COMP_CNT: 0
	.text
	.p2alignl 6, 3214868480
	.fill 48, 4, 3214868480
	.type	__hip_cuid_8a768f0da32d9af5,@object ; @__hip_cuid_8a768f0da32d9af5
	.section	.bss,"aw",@nobits
	.globl	__hip_cuid_8a768f0da32d9af5
__hip_cuid_8a768f0da32d9af5:
	.byte	0                               ; 0x0
	.size	__hip_cuid_8a768f0da32d9af5, 1

	.ident	"AMD clang version 19.0.0git (https://github.com/RadeonOpenCompute/llvm-project roc-6.4.0 25133 c7fe45cf4b819c5991fe208aaa96edf142730f1d)"
	.section	".note.GNU-stack","",@progbits
	.addrsig
	.addrsig_sym __hip_cuid_8a768f0da32d9af5
	.amdgpu_metadata
---
amdhsa.kernels:
  - .args:
      - .actual_access:  read_only
        .address_space:  global
        .offset:         0
        .size:           8
        .value_kind:     global_buffer
      - .actual_access:  read_only
        .address_space:  global
        .offset:         8
        .size:           8
        .value_kind:     global_buffer
      - .actual_access:  read_only
        .address_space:  global
        .offset:         16
        .size:           8
        .value_kind:     global_buffer
      - .actual_access:  read_only
        .address_space:  global
        .offset:         24
        .size:           8
        .value_kind:     global_buffer
      - .actual_access:  read_only
        .address_space:  global
        .offset:         32
        .size:           8
        .value_kind:     global_buffer
      - .offset:         40
        .size:           8
        .value_kind:     by_value
      - .address_space:  global
        .offset:         48
        .size:           8
        .value_kind:     global_buffer
      - .address_space:  global
        .offset:         56
        .size:           8
        .value_kind:     global_buffer
      - .address_space:  global
        .offset:         64
        .size:           8
        .value_kind:     global_buffer
      - .address_space:  global
        .offset:         72
        .size:           8
        .value_kind:     global_buffer
      - .offset:         80
        .size:           4
        .value_kind:     by_value
      - .address_space:  global
        .offset:         88
        .size:           8
        .value_kind:     global_buffer
      - .address_space:  global
        .offset:         96
        .size:           8
        .value_kind:     global_buffer
    .group_segment_fixed_size: 17952
    .kernarg_segment_align: 8
    .kernarg_segment_size: 104
    .language:       OpenCL C
    .language_version:
      - 2
      - 0
    .max_flat_workgroup_size: 204
    .name:           bluestein_single_back_len1122_dim1_sp_op_CI_CI
    .private_segment_fixed_size: 0
    .sgpr_count:     18
    .sgpr_spill_count: 0
    .symbol:         bluestein_single_back_len1122_dim1_sp_op_CI_CI.kd
    .uniform_work_group_size: 1
    .uses_dynamic_stack: false
    .vgpr_count:     232
    .vgpr_spill_count: 0
    .wavefront_size: 32
    .workgroup_processor_mode: 1
amdhsa.target:   amdgcn-amd-amdhsa--gfx1030
amdhsa.version:
  - 1
  - 2
...

	.end_amdgpu_metadata
